;; amdgpu-corpus repo=ROCm/rocFFT kind=compiled arch=gfx1201 opt=O3
	.text
	.amdgcn_target "amdgcn-amd-amdhsa--gfx1201"
	.amdhsa_code_object_version 6
	.protected	bluestein_single_back_len612_dim1_dp_op_CI_CI ; -- Begin function bluestein_single_back_len612_dim1_dp_op_CI_CI
	.globl	bluestein_single_back_len612_dim1_dp_op_CI_CI
	.p2align	8
	.type	bluestein_single_back_len612_dim1_dp_op_CI_CI,@function
bluestein_single_back_len612_dim1_dp_op_CI_CI: ; @bluestein_single_back_len612_dim1_dp_op_CI_CI
; %bb.0:
	s_load_b128 s[4:7], s[0:1], 0x28
	v_mul_u32_u24_e32 v1, 0x506, v0
	s_mov_b32 s2, exec_lo
	v_mov_b32_e32 v4, 0
	s_delay_alu instid0(VALU_DEP_2) | instskip(NEXT) | instid1(VALU_DEP_1)
	v_lshrrev_b32_e32 v1, 16, v1
	v_add_nc_u32_e32 v3, ttmp9, v1
	s_delay_alu instid0(VALU_DEP_1)
	v_mov_b32_e32 v2, v3
	scratch_store_b64 off, v[2:3], off      ; 8-byte Folded Spill
	s_wait_kmcnt 0x0
	v_cmpx_gt_u64_e64 s[4:5], v[3:4]
	s_cbranch_execz .LBB0_15
; %bb.1:
	v_mul_lo_u16 v1, v1, 51
	s_clause 0x1
	s_load_b64 s[12:13], s[0:1], 0x0
	s_load_b64 s[14:15], s[0:1], 0x38
	s_delay_alu instid0(VALU_DEP_1) | instskip(NEXT) | instid1(VALU_DEP_1)
	v_sub_nc_u16 v0, v0, v1
	v_and_b32_e32 v152, 0xffff, v0
	v_cmp_gt_u16_e32 vcc_lo, 36, v0
	s_delay_alu instid0(VALU_DEP_2)
	v_lshlrev_b32_e32 v255, 4, v152
	v_or_b32_e32 v0, 0x240, v152
	scratch_store_b32 off, v0, off offset:136 ; 4-byte Folded Spill
	s_and_saveexec_b32 s3, vcc_lo
	s_cbranch_execz .LBB0_3
; %bb.2:
	scratch_load_b64 v[0:1], off, off       ; 8-byte Folded Reload
	s_load_b64 s[4:5], s[0:1], 0x18
	v_or_b32_e32 v66, 0x240, v152
	s_wait_kmcnt 0x0
	s_load_b128 s[8:11], s[4:5], 0x0
	s_wait_kmcnt 0x0
	v_mad_co_u64_u32 v[60:61], null, s8, v152, 0
	v_mad_co_u64_u32 v[62:63], null, s8, v66, 0
	s_mul_u64 s[4:5], s[8:9], 0x240
	s_wait_loadcnt 0x0
	s_delay_alu instid0(VALU_DEP_2)
	v_dual_mov_b32 v33, v61 :: v_dual_mov_b32 v34, v0
	s_clause 0x7
	global_load_b128 v[0:3], v255, s[12:13]
	global_load_b128 v[4:7], v255, s[12:13] offset:576
	global_load_b128 v[8:11], v255, s[12:13] offset:1152
	;; [unrolled: 1-line block ×7, first 2 shown]
	v_mad_co_u64_u32 v[56:57], null, s10, v34, 0
	v_mad_co_u64_u32 v[58:59], null, s9, v152, v[33:34]
	s_delay_alu instid0(VALU_DEP_1) | instskip(NEXT) | instid1(VALU_DEP_1)
	v_dual_mov_b32 v32, v57 :: v_dual_mov_b32 v61, v58
	v_mad_co_u64_u32 v[48:49], null, s11, v34, v[32:33]
	s_delay_alu instid0(VALU_DEP_2)
	v_lshlrev_b64_e32 v[60:61], 4, v[60:61]
	s_clause 0x3
	global_load_b128 v[32:35], v255, s[12:13] offset:4608
	global_load_b128 v[36:39], v255, s[12:13] offset:5184
	;; [unrolled: 1-line block ×4, first 2 shown]
	v_mov_b32_e32 v57, v48
	s_clause 0x1
	global_load_b128 v[48:51], v255, s[12:13] offset:6912
	global_load_b128 v[52:55], v255, s[12:13] offset:7488
	v_lshlrev_b64_e32 v[64:65], 4, v[56:57]
	global_load_b128 v[56:59], v255, s[12:13] offset:9216
	v_mad_co_u64_u32 v[66:67], null, s9, v66, v[63:64]
	v_add_co_u32 v67, s2, s6, v64
	s_delay_alu instid0(VALU_DEP_1) | instskip(NEXT) | instid1(VALU_DEP_2)
	v_add_co_ci_u32_e64 v70, s2, s7, v65, s2
	v_add_co_u32 v64, s2, v67, v60
	s_wait_alu 0xf1ff
	s_delay_alu instid0(VALU_DEP_2)
	v_add_co_ci_u32_e64 v65, s2, v70, v61, s2
	v_mov_b32_e32 v63, v66
	s_wait_alu 0xfffe
	v_add_co_u32 v68, s2, v64, s4
	s_wait_alu 0xf1ff
	v_add_co_ci_u32_e64 v69, s2, s5, v65, s2
	v_lshlrev_b64_e32 v[60:61], 4, v[62:63]
	s_delay_alu instid0(VALU_DEP_3) | instskip(SKIP_1) | instid1(VALU_DEP_3)
	v_add_co_u32 v72, s2, v68, s4
	s_wait_alu 0xf1ff
	v_add_co_ci_u32_e64 v73, s2, s5, v69, s2
	s_delay_alu instid0(VALU_DEP_3)
	v_add_co_u32 v60, s2, v67, v60
	s_wait_alu 0xf1ff
	v_add_co_ci_u32_e64 v61, s2, v70, v61, s2
	v_add_co_u32 v76, s2, v72, s4
	s_wait_alu 0xf1ff
	v_add_co_ci_u32_e64 v77, s2, s5, v73, s2
	global_load_b128 v[60:63], v[60:61], off
	v_add_co_u32 v80, s2, v76, s4
	s_wait_alu 0xf1ff
	v_add_co_ci_u32_e64 v81, s2, s5, v77, s2
	s_clause 0x1
	global_load_b128 v[64:67], v[64:65], off
	global_load_b128 v[68:71], v[68:69], off
	v_add_co_u32 v84, s2, v80, s4
	s_wait_alu 0xf1ff
	v_add_co_ci_u32_e64 v85, s2, s5, v81, s2
	s_clause 0x1
	global_load_b128 v[72:75], v[72:73], off
	global_load_b128 v[76:79], v[76:77], off
	v_add_co_u32 v88, s2, v84, s4
	s_wait_alu 0xf1ff
	v_add_co_ci_u32_e64 v89, s2, s5, v85, s2
	global_load_b128 v[80:83], v[80:81], off
	v_add_co_u32 v92, s2, v88, s4
	s_wait_alu 0xf1ff
	v_add_co_ci_u32_e64 v93, s2, s5, v89, s2
	;; [unrolled: 4-line block ×10, first 2 shown]
	global_load_b128 v[116:119], v[116:117], off
	global_load_b128 v[120:123], v[120:121], off
	s_clause 0x1
	global_load_b128 v[124:127], v255, s[12:13] offset:8064
	global_load_b128 v[128:131], v255, s[12:13] offset:8640
	global_load_b128 v[132:135], v[132:133], off
	s_wait_loadcnt 0x12
	v_mul_f64_e32 v[138:139], v[62:63], v[58:59]
	v_mul_f64_e32 v[171:172], v[60:61], v[58:59]
	s_wait_loadcnt 0x11
	v_mul_f64_e32 v[136:137], v[66:67], v[2:3]
	v_mul_f64_e32 v[2:3], v[64:65], v[2:3]
	;; [unrolled: 3-line block ×11, first 2 shown]
	v_fma_f64 v[64:65], v[64:65], v[0:1], v[136:137]
	v_fma_f64 v[66:67], v[66:67], v[0:1], -v[2:3]
	v_fma_f64 v[0:1], v[60:61], v[56:57], v[138:139]
	s_wait_loadcnt 0x7
	v_mul_f64_e32 v[159:160], v[106:107], v[42:43]
	v_mul_f64_e32 v[42:43], v[104:105], v[42:43]
	v_fma_f64 v[58:59], v[68:69], v[4:5], v[140:141]
	v_fma_f64 v[60:61], v[70:71], v[4:5], -v[6:7]
	v_fma_f64 v[4:5], v[72:73], v[8:9], v[142:143]
	s_wait_loadcnt 0x6
	v_mul_f64_e32 v[161:162], v[110:111], v[46:47]
	v_mul_f64_e32 v[46:47], v[108:109], v[46:47]
	v_fma_f64 v[6:7], v[74:75], v[8:9], -v[10:11]
	v_fma_f64 v[8:9], v[76:77], v[12:13], v[144:145]
	v_fma_f64 v[10:11], v[78:79], v[12:13], -v[14:15]
	s_wait_loadcnt 0x5
	v_mul_f64_e32 v[163:164], v[114:115], v[50:51]
	v_mul_f64_e32 v[50:51], v[112:113], v[50:51]
	s_wait_loadcnt 0x4
	v_mul_f64_e32 v[165:166], v[118:119], v[54:55]
	v_mul_f64_e32 v[54:55], v[116:117], v[54:55]
	;; [unrolled: 3-line block ×4, first 2 shown]
	v_fma_f64 v[12:13], v[80:81], v[16:17], v[146:147]
	v_fma_f64 v[14:15], v[82:83], v[16:17], -v[18:19]
	v_fma_f64 v[16:17], v[84:85], v[20:21], v[148:149]
	v_fma_f64 v[18:19], v[86:87], v[20:21], -v[22:23]
	;; [unrolled: 2-line block ×4, first 2 shown]
	v_fma_f64 v[2:3], v[62:63], v[56:57], -v[171:172]
	v_fma_f64 v[28:29], v[96:97], v[32:33], v[155:156]
	v_fma_f64 v[30:31], v[98:99], v[32:33], -v[34:35]
	v_fma_f64 v[32:33], v[100:101], v[36:37], v[157:158]
	v_fma_f64 v[34:35], v[102:103], v[36:37], -v[38:39]
	v_fma_f64 v[36:37], v[104:105], v[40:41], v[159:160]
	v_fma_f64 v[38:39], v[106:107], v[40:41], -v[42:43]
	v_fma_f64 v[40:41], v[108:109], v[44:45], v[161:162]
	v_fma_f64 v[42:43], v[110:111], v[44:45], -v[46:47]
	v_fma_f64 v[44:45], v[112:113], v[48:49], v[163:164]
	v_fma_f64 v[46:47], v[114:115], v[48:49], -v[50:51]
	v_fma_f64 v[48:49], v[116:117], v[52:53], v[165:166]
	v_fma_f64 v[50:51], v[118:119], v[52:53], -v[54:55]
	v_fma_f64 v[52:53], v[120:121], v[124:125], v[167:168]
	v_fma_f64 v[54:55], v[122:123], v[124:125], -v[126:127]
	v_fma_f64 v[68:69], v[132:133], v[128:129], v[169:170]
	v_fma_f64 v[70:71], v[134:135], v[128:129], -v[130:131]
	ds_store_b128 v255, v[64:67]
	ds_store_b128 v255, v[58:61] offset:576
	ds_store_b128 v255, v[4:7] offset:1152
	;; [unrolled: 1-line block ×16, first 2 shown]
.LBB0_3:
	s_or_b32 exec_lo, exec_lo, s3
	s_clause 0x1
	s_load_b64 s[2:3], s[0:1], 0x20
	s_load_b64 s[0:1], s[0:1], 0x8
	global_wb scope:SCOPE_SE
	s_wait_storecnt_dscnt 0x0
	s_wait_kmcnt 0x0
	s_barrier_signal -1
	s_barrier_wait -1
	global_inv scope:SCOPE_SE
                                        ; implicit-def: $vgpr20_vgpr21
                                        ; implicit-def: $vgpr36_vgpr37
                                        ; implicit-def: $vgpr40_vgpr41
                                        ; implicit-def: $vgpr44_vgpr45
                                        ; implicit-def: $vgpr48_vgpr49
                                        ; implicit-def: $vgpr52_vgpr53
                                        ; implicit-def: $vgpr56_vgpr57
                                        ; implicit-def: $vgpr60_vgpr61
                                        ; implicit-def: $vgpr68_vgpr69
                                        ; implicit-def: $vgpr72_vgpr73
                                        ; implicit-def: $vgpr76_vgpr77
                                        ; implicit-def: $vgpr80_vgpr81
                                        ; implicit-def: $vgpr84_vgpr85
                                        ; implicit-def: $vgpr64_vgpr65
                                        ; implicit-def: $vgpr32_vgpr33
                                        ; implicit-def: $vgpr28_vgpr29
                                        ; implicit-def: $vgpr24_vgpr25
	s_and_saveexec_b32 s4, vcc_lo
	s_cbranch_execz .LBB0_5
; %bb.4:
	ds_load_b128 v[20:23], v255
	ds_load_b128 v[36:39], v255 offset:576
	ds_load_b128 v[40:43], v255 offset:1152
	;; [unrolled: 1-line block ×16, first 2 shown]
.LBB0_5:
	s_wait_alu 0xfffe
	s_or_b32 exec_lo, exec_lo, s4
	s_wait_dscnt 0x0
	v_add_f64_e64 v[171:172], v[38:39], -v[26:27]
	v_add_f64_e64 v[102:103], v[42:43], -v[30:31]
	s_mov_b32 s4, 0x5d8e7cdc
	s_mov_b32 s10, 0x2a9d6da3
	;; [unrolled: 1-line block ×4, first 2 shown]
	v_add_f64_e32 v[167:168], v[36:37], v[24:25]
	v_add_f64_e64 v[100:101], v[40:41], -v[28:29]
	s_mov_b32 s6, 0x370991
	s_mov_b32 s7, 0x3fedd6d0
	v_add_f64_e32 v[88:89], v[40:41], v[28:29]
	s_mov_b32 s8, 0x75d4884
	s_mov_b32 s9, 0x3fe7a5f6
	v_add_f64_e64 v[183:184], v[36:37], -v[24:25]
	v_add_f64_e32 v[179:180], v[38:39], v[26:27]
	v_add_f64_e32 v[92:93], v[42:43], v[30:31]
	v_add_f64_e64 v[114:115], v[46:47], -v[34:35]
	s_mov_b32 s18, 0x7c9e640b
	s_mov_b32 s19, 0xbfeca52d
	v_add_f64_e32 v[96:97], v[44:45], v[32:33]
	s_mov_b32 s16, 0x2b2883cd
	s_mov_b32 s22, 0xeb564b22
	;; [unrolled: 1-line block ×4, first 2 shown]
	v_add_f64_e64 v[112:113], v[44:45], -v[32:33]
	v_add_f64_e32 v[108:109], v[46:47], v[34:35]
	s_mov_b32 s54, 0x6c9a05f6
	s_mov_b32 s55, 0xbfe9895b
	v_add_f64_e64 v[126:127], v[50:51], -v[66:67]
	v_add_f64_e32 v[104:105], v[48:49], v[64:65]
	s_mov_b32 s20, 0x3259b75e
	s_mov_b32 s21, 0x3fb79ee6
	;; [unrolled: 4-line block ×3, first 2 shown]
	v_add_f64_e64 v[140:141], v[54:55], -v[86:87]
	s_mov_b32 s26, 0x923c349f
	s_wait_alu 0xfffe
	v_mul_f64_e32 v[0:1], s[4:5], v[171:172]
	v_mul_f64_e32 v[2:3], s[10:11], v[102:103]
	;; [unrolled: 1-line block ×5, first 2 shown]
	s_mov_b32 s27, 0xbfeec746
	v_add_f64_e32 v[120:121], v[52:53], v[84:85]
	v_mul_f64_e32 v[4:5], s[10:11], v[100:101]
	v_mul_f64_e32 v[8:9], s[22:23], v[100:101]
	s_mov_b32 s24, 0xc61f0d01
	s_mov_b32 s25, 0xbfd183b1
	v_add_f64_e64 v[142:143], v[52:53], -v[84:85]
	v_mul_f64_e32 v[12:13], s[54:55], v[100:101]
	v_add_f64_e32 v[128:129], v[54:55], v[86:87]
	v_add_f64_e64 v[163:164], v[58:59], -v[82:83]
	v_add_f64_e32 v[132:133], v[56:57], v[80:81]
	s_mov_b32 s28, 0x6ed5f1bb
	s_mov_b32 s29, 0xbfe348c8
	v_add_f64_e64 v[161:162], v[56:57], -v[80:81]
	v_add_f64_e32 v[144:145], v[58:59], v[82:83]
	v_add_f64_e64 v[175:176], v[62:63], -v[78:79]
	s_mov_b32 s36, 0x4363dd80
	s_mov_b32 s37, 0x3fe0d888
	s_mov_b32 s41, 0xbfe0d888
	s_mov_b32 s40, s36
	v_add_f64_e32 v[136:137], v[60:61], v[76:77]
	s_mov_b32 s30, 0x910ea3b9
	s_mov_b32 s31, 0xbfeb34fa
	v_add_f64_e64 v[165:166], v[60:61], -v[76:77]
	v_add_f64_e32 v[153:154], v[62:63], v[78:79]
	v_add_f64_e64 v[177:178], v[70:71], -v[74:75]
	v_add_f64_e32 v[148:149], v[68:69], v[72:73]
	s_mov_b32 s34, 0x7faef3
	s_mov_b32 s35, 0xbfef7484
	v_add_f64_e64 v[173:174], v[68:69], -v[72:73]
	v_add_f64_e32 v[157:158], v[70:71], v[74:75]
	v_mul_f64_e32 v[195:196], s[10:11], v[171:172]
	v_mul_f64_e32 v[197:198], s[10:11], v[183:184]
	s_mov_b32 s51, 0x3feec746
	s_clause 0x1
	scratch_store_b64 off, v[2:3], off offset:8
	scratch_store_b64 off, v[0:1], off offset:204
	v_fma_f64 v[0:1], v[167:168], s[6:7], v[0:1]
	v_fma_f64 v[2:3], v[88:89], s[8:9], v[2:3]
	s_mov_b32 s50, s26
	s_mov_b32 s45, 0x3feca52d
	scratch_store_b64 off, v[4:5], off offset:16 ; 8-byte Folded Spill
	v_fma_f64 v[4:5], v[92:93], s[8:9], -v[4:5]
	s_mov_b32 s44, s18
	s_mov_b32 s43, 0x3fd71e95
	v_mul_f64_e32 v[225:226], s[36:37], v[142:143]
	s_mov_b32 s42, s4
	v_mul_f64_e32 v[199:200], s[18:19], v[171:172]
	v_mul_f64_e32 v[219:220], s[50:51], v[163:164]
	;; [unrolled: 1-line block ×3, first 2 shown]
	s_mov_b32 s47, 0x3fc7851a
	s_mov_b32 s46, s38
	v_mul_f64_e32 v[251:252], s[50:51], v[161:162]
	v_mul_f64_e32 v[229:230], s[46:47], v[112:113]
	;; [unrolled: 1-line block ×3, first 2 shown]
	s_mov_b32 s49, 0x3fe58eea
	s_mov_b32 s48, s10
	v_mul_f64_e32 v[98:99], s[4:5], v[163:164]
	v_mul_f64_e32 v[237:238], s[48:49], v[140:141]
	;; [unrolled: 1-line block ×18, first 2 shown]
	v_add_f64_e32 v[0:1], v[20:21], v[0:1]
	v_mul_f64_e32 v[155:156], s[18:19], v[142:143]
	v_mul_f64_e32 v[146:147], s[40:41], v[163:164]
	;; [unrolled: 1-line block ×3, first 2 shown]
	s_mov_b32 s53, 0x3fe9895b
	s_mov_b32 s52, s54
	v_mul_f64_e32 v[247:248], s[48:49], v[177:178]
	v_mul_f64_e32 v[90:91], s[52:53], v[175:176]
	;; [unrolled: 1-line block ×14, first 2 shown]
	s_mov_b32 s57, 0x3fefdd0d
	s_mov_b32 s56, s22
	v_mul_f64_e32 v[138:139], s[4:5], v[175:176]
	v_mul_f64_e32 v[187:188], s[56:57], v[163:164]
	;; [unrolled: 1-line block ×4, first 2 shown]
	scratch_store_b64 off, v[6:7], off offset:220 ; 8-byte Folded Spill
	v_fma_f64 v[6:7], v[88:89], s[20:21], v[6:7]
	scratch_store_b64 off, v[8:9], off offset:252 ; 8-byte Folded Spill
	v_fma_f64 v[8:9], v[92:93], s[20:21], -v[8:9]
	v_fma_f64 v[16:17], v[92:93], s[34:35], -v[231:232]
	scratch_store_b64 off, v[10:11], off offset:260 ; 8-byte Folded Spill
	v_fma_f64 v[10:11], v[88:89], s[28:29], v[10:11]
	scratch_store_b64 off, v[12:13], off offset:340 ; 8-byte Folded Spill
	v_fma_f64 v[12:13], v[92:93], s[28:29], -v[12:13]
	scratch_store_b64 off, v[14:15], off offset:324 ; 8-byte Folded Spill
	v_fma_f64 v[14:15], v[88:89], s[34:35], v[14:15]
	v_add_f64_e32 v[0:1], v[2:3], v[0:1]
	v_mul_f64_e32 v[2:3], s[4:5], v[183:184]
	v_fma_f64 v[18:19], v[88:89], s[30:31], v[221:222]
	v_fma_f64 v[122:123], v[92:93], s[30:31], -v[253:254]
	scratch_store_b64 off, v[2:3], off offset:212 ; 8-byte Folded Spill
	v_fma_f64 v[2:3], v[179:180], s[6:7], -v[2:3]
	s_delay_alu instid0(VALU_DEP_1) | instskip(NEXT) | instid1(VALU_DEP_1)
	v_add_f64_e32 v[2:3], v[22:23], v[2:3]
	v_add_f64_e32 v[2:3], v[4:5], v[2:3]
	v_mul_f64_e32 v[4:5], s[18:19], v[114:115]
	scratch_store_b64 off, v[4:5], off offset:32 ; 8-byte Folded Spill
	v_fma_f64 v[4:5], v[96:97], s[16:17], v[4:5]
	s_delay_alu instid0(VALU_DEP_1) | instskip(SKIP_3) | instid1(VALU_DEP_1)
	v_add_f64_e32 v[0:1], v[4:5], v[0:1]
	v_mul_f64_e32 v[4:5], s[18:19], v[112:113]
	scratch_store_b64 off, v[4:5], off offset:64 ; 8-byte Folded Spill
	v_fma_f64 v[4:5], v[108:109], s[16:17], -v[4:5]
	v_add_f64_e32 v[2:3], v[4:5], v[2:3]
	v_mul_f64_e32 v[4:5], s[22:23], v[126:127]
	scratch_store_b64 off, v[4:5], off offset:48 ; 8-byte Folded Spill
	v_fma_f64 v[4:5], v[104:105], s[20:21], v[4:5]
	s_delay_alu instid0(VALU_DEP_1) | instskip(SKIP_3) | instid1(VALU_DEP_1)
	v_add_f64_e32 v[0:1], v[4:5], v[0:1]
	v_mul_f64_e32 v[4:5], s[22:23], v[124:125]
	scratch_store_b64 off, v[4:5], off offset:80 ; 8-byte Folded Spill
	v_fma_f64 v[4:5], v[116:117], s[20:21], -v[4:5]
	;; [unrolled: 9-line block ×6, first 2 shown]
	v_add_f64_e32 v[2:3], v[4:5], v[2:3]
	v_fma_f64 v[4:5], v[167:168], s[8:9], v[195:196]
	s_delay_alu instid0(VALU_DEP_1) | instskip(NEXT) | instid1(VALU_DEP_1)
	v_add_f64_e32 v[4:5], v[20:21], v[4:5]
	v_add_f64_e32 v[4:5], v[6:7], v[4:5]
	v_fma_f64 v[6:7], v[179:180], s[8:9], -v[197:198]
	s_delay_alu instid0(VALU_DEP_1) | instskip(NEXT) | instid1(VALU_DEP_1)
	v_add_f64_e32 v[6:7], v[22:23], v[6:7]
	v_add_f64_e32 v[6:7], v[8:9], v[6:7]
	v_mul_f64_e32 v[8:9], s[54:55], v[114:115]
	scratch_store_b64 off, v[8:9], off offset:236 ; 8-byte Folded Spill
	v_fma_f64 v[8:9], v[96:97], s[28:29], v[8:9]
	s_delay_alu instid0(VALU_DEP_1) | instskip(SKIP_3) | instid1(VALU_DEP_1)
	v_add_f64_e32 v[4:5], v[8:9], v[4:5]
	v_mul_f64_e32 v[8:9], s[54:55], v[112:113]
	scratch_store_b64 off, v[8:9], off offset:276 ; 8-byte Folded Spill
	v_fma_f64 v[8:9], v[108:109], s[28:29], -v[8:9]
	v_add_f64_e32 v[6:7], v[8:9], v[6:7]
	v_mul_f64_e32 v[8:9], s[38:39], v[126:127]
	scratch_store_b64 off, v[8:9], off offset:244 ; 8-byte Folded Spill
	v_fma_f64 v[8:9], v[104:105], s[34:35], v[8:9]
	s_delay_alu instid0(VALU_DEP_1) | instskip(SKIP_3) | instid1(VALU_DEP_1)
	v_add_f64_e32 v[4:5], v[8:9], v[4:5]
	v_mul_f64_e32 v[8:9], s[38:39], v[124:125]
	scratch_store_b64 off, v[8:9], off offset:348 ; 8-byte Folded Spill
	v_fma_f64 v[8:9], v[116:117], s[34:35], -v[8:9]
	v_add_f64_e32 v[6:7], v[8:9], v[6:7]
	v_mul_f64_e32 v[8:9], s[36:37], v[140:141]
	scratch_store_b64 off, v[8:9], off offset:284 ; 8-byte Folded Spill
	v_fma_f64 v[8:9], v[120:121], s[30:31], v[8:9]
	s_delay_alu instid0(VALU_DEP_1) | instskip(SKIP_1) | instid1(VALU_DEP_1)
	v_add_f64_e32 v[4:5], v[8:9], v[4:5]
	v_fma_f64 v[8:9], v[128:129], s[30:31], -v[225:226]
	v_add_f64_e32 v[6:7], v[8:9], v[6:7]
	v_fma_f64 v[8:9], v[132:133], s[24:25], v[219:220]
	s_delay_alu instid0(VALU_DEP_1) | instskip(SKIP_1) | instid1(VALU_DEP_1)
	v_add_f64_e32 v[4:5], v[8:9], v[4:5]
	v_fma_f64 v[8:9], v[144:145], s[24:25], -v[251:252]
	v_add_f64_e32 v[6:7], v[8:9], v[6:7]
	v_mul_f64_e32 v[8:9], s[44:45], v[175:176]
	scratch_store_b64 off, v[8:9], off offset:292 ; 8-byte Folded Spill
	v_fma_f64 v[8:9], v[136:137], s[16:17], v[8:9]
	s_delay_alu instid0(VALU_DEP_1) | instskip(SKIP_1) | instid1(VALU_DEP_1)
	v_add_f64_e32 v[4:5], v[8:9], v[4:5]
	v_fma_f64 v[8:9], v[153:154], s[16:17], -v[213:214]
	v_add_f64_e32 v[6:7], v[8:9], v[6:7]
	v_mul_f64_e32 v[8:9], s[42:43], v[177:178]
	scratch_store_b64 off, v[8:9], off offset:308 ; 8-byte Folded Spill
	v_fma_f64 v[8:9], v[148:149], s[6:7], v[8:9]
	s_delay_alu instid0(VALU_DEP_1) | instskip(SKIP_1) | instid1(VALU_DEP_1)
	v_add_f64_e32 v[4:5], v[8:9], v[4:5]
	v_fma_f64 v[8:9], v[157:158], s[6:7], -v[215:216]
	v_add_f64_e32 v[6:7], v[8:9], v[6:7]
	v_fma_f64 v[8:9], v[167:168], s[16:17], v[199:200]
	s_delay_alu instid0(VALU_DEP_1) | instskip(NEXT) | instid1(VALU_DEP_1)
	v_add_f64_e32 v[8:9], v[20:21], v[8:9]
	v_add_f64_e32 v[8:9], v[10:11], v[8:9]
	v_fma_f64 v[10:11], v[179:180], s[16:17], -v[201:202]
	s_delay_alu instid0(VALU_DEP_1) | instskip(NEXT) | instid1(VALU_DEP_1)
	v_add_f64_e32 v[10:11], v[22:23], v[10:11]
	v_add_f64_e32 v[10:11], v[12:13], v[10:11]
	v_mul_f64_e32 v[12:13], s[46:47], v[114:115]
	scratch_store_b64 off, v[12:13], off offset:316 ; 8-byte Folded Spill
	v_fma_f64 v[12:13], v[96:97], s[34:35], v[12:13]
	s_delay_alu instid0(VALU_DEP_1) | instskip(SKIP_1) | instid1(VALU_DEP_1)
	v_add_f64_e32 v[8:9], v[12:13], v[8:9]
	v_fma_f64 v[12:13], v[108:109], s[34:35], -v[229:230]
	v_add_f64_e32 v[10:11], v[12:13], v[10:11]
	v_mul_f64_e32 v[12:13], s[50:51], v[126:127]
	scratch_store_b64 off, v[12:13], off offset:332 ; 8-byte Folded Spill
	v_fma_f64 v[12:13], v[104:105], s[24:25], v[12:13]
	global_wb scope:SCOPE_SE
	s_wait_storecnt 0x0
	s_barrier_signal -1
	s_barrier_wait -1
	global_inv scope:SCOPE_SE
	v_add_f64_e32 v[8:9], v[12:13], v[8:9]
	v_fma_f64 v[12:13], v[116:117], s[24:25], -v[243:244]
	s_delay_alu instid0(VALU_DEP_1) | instskip(SKIP_1) | instid1(VALU_DEP_1)
	v_add_f64_e32 v[10:11], v[12:13], v[10:11]
	v_fma_f64 v[12:13], v[120:121], s[8:9], v[237:238]
	v_add_f64_e32 v[8:9], v[12:13], v[8:9]
	v_fma_f64 v[12:13], v[128:129], s[8:9], -v[134:135]
	s_delay_alu instid0(VALU_DEP_1) | instskip(SKIP_1) | instid1(VALU_DEP_1)
	v_add_f64_e32 v[10:11], v[12:13], v[10:11]
	v_fma_f64 v[12:13], v[132:133], s[6:7], v[98:99]
	;; [unrolled: 5-line block ×5, first 2 shown]
	v_add_f64_e32 v[12:13], v[20:21], v[12:13]
	s_delay_alu instid0(VALU_DEP_1) | instskip(SKIP_1) | instid1(VALU_DEP_1)
	v_add_f64_e32 v[12:13], v[14:15], v[12:13]
	v_fma_f64 v[14:15], v[179:180], s[20:21], -v[205:206]
	v_add_f64_e32 v[14:15], v[22:23], v[14:15]
	s_delay_alu instid0(VALU_DEP_1) | instskip(SKIP_1) | instid1(VALU_DEP_1)
	v_add_f64_e32 v[14:15], v[16:17], v[14:15]
	v_fma_f64 v[16:17], v[96:97], s[24:25], v[217:218]
	v_add_f64_e32 v[12:13], v[16:17], v[12:13]
	v_fma_f64 v[16:17], v[108:109], s[24:25], -v[249:250]
	s_delay_alu instid0(VALU_DEP_1) | instskip(SKIP_1) | instid1(VALU_DEP_1)
	v_add_f64_e32 v[14:15], v[16:17], v[14:15]
	v_fma_f64 v[16:17], v[104:105], s[6:7], v[223:224]
	v_add_f64_e32 v[12:13], v[16:17], v[12:13]
	v_fma_f64 v[16:17], v[116:117], s[6:7], -v[110:111]
	;; [unrolled: 5-line block ×6, first 2 shown]
	s_delay_alu instid0(VALU_DEP_1) | instskip(SKIP_1) | instid1(VALU_DEP_1)
	v_add_f64_e32 v[14:15], v[16:17], v[14:15]
	v_fma_f64 v[16:17], v[167:168], s[24:25], v[207:208]
	v_add_f64_e32 v[16:17], v[20:21], v[16:17]
	s_delay_alu instid0(VALU_DEP_1) | instskip(SKIP_1) | instid1(VALU_DEP_1)
	v_add_f64_e32 v[16:17], v[18:19], v[16:17]
	v_fma_f64 v[18:19], v[179:180], s[24:25], -v[209:210]
	v_add_f64_e32 v[18:19], v[22:23], v[18:19]
	s_delay_alu instid0(VALU_DEP_1) | instskip(SKIP_1) | instid1(VALU_DEP_1)
	v_add_f64_e32 v[18:19], v[122:123], v[18:19]
	v_fma_f64 v[122:123], v[96:97], s[8:9], v[235:236]
	v_add_f64_e32 v[16:17], v[122:123], v[16:17]
	v_fma_f64 v[122:123], v[108:109], s[8:9], -v[130:131]
	s_delay_alu instid0(VALU_DEP_1) | instskip(SKIP_1) | instid1(VALU_DEP_1)
	v_add_f64_e32 v[18:19], v[122:123], v[18:19]
	v_fma_f64 v[122:123], v[104:105], s[16:17], v[239:240]
	v_add_f64_e32 v[16:17], v[122:123], v[16:17]
	v_fma_f64 v[122:123], v[116:117], s[16:17], -v[169:170]
	;; [unrolled: 5-line block ×5, first 2 shown]
	s_delay_alu instid0(VALU_DEP_1) | instskip(SKIP_1) | instid1(VALU_DEP_1)
	v_add_f64_e32 v[18:19], v[122:123], v[18:19]
	v_mul_f64_e32 v[122:123], s[54:55], v[177:178]
	v_fma_f64 v[159:160], v[148:149], s[28:29], v[122:123]
	s_delay_alu instid0(VALU_DEP_1) | instskip(SKIP_1) | instid1(VALU_DEP_1)
	v_add_f64_e32 v[16:17], v[159:160], v[16:17]
	v_mul_f64_e32 v[159:160], s[54:55], v[173:174]
	v_fma_f64 v[211:212], v[157:158], s[28:29], -v[159:160]
	s_delay_alu instid0(VALU_DEP_1)
	v_add_f64_e32 v[18:19], v[211:212], v[18:19]
	s_and_saveexec_b32 s33, vcc_lo
	s_cbranch_execz .LBB0_7
; %bb.6:
	v_add_f64_e32 v[36:37], v[20:21], v[36:37]
	v_add_f64_e32 v[38:39], v[22:23], v[38:39]
	scratch_load_b64 v[211:212], off, off offset:220 th:TH_LOAD_LU ; 8-byte Folded Reload
	v_add_f64_e32 v[36:37], v[36:37], v[40:41]
	v_add_f64_e32 v[38:39], v[38:39], v[42:43]
	v_mul_f64_e32 v[40:41], s[24:25], v[179:180]
	v_mul_f64_e32 v[42:43], s[24:25], v[167:168]
	s_delay_alu instid0(VALU_DEP_4) | instskip(NEXT) | instid1(VALU_DEP_4)
	v_add_f64_e32 v[36:37], v[36:37], v[44:45]
	v_add_f64_e32 v[38:39], v[38:39], v[46:47]
	v_mul_f64_e32 v[44:45], s[20:21], v[179:180]
	v_mul_f64_e32 v[46:47], s[20:21], v[167:168]
	v_add_f64_e32 v[40:41], v[209:210], v[40:41]
	v_add_f64_e64 v[42:43], v[42:43], -v[207:208]
	v_mul_f64_e32 v[207:208], s[30:31], v[120:121]
	scratch_load_b64 v[209:210], off, off offset:284 th:TH_LOAD_LU ; 8-byte Folded Reload
	v_add_f64_e32 v[36:37], v[36:37], v[48:49]
	v_add_f64_e32 v[38:39], v[38:39], v[50:51]
	;; [unrolled: 1-line block ×3, first 2 shown]
	scratch_load_b64 v[205:206], off, off offset:252 th:TH_LOAD_LU ; 8-byte Folded Reload
	v_mul_f64_e32 v[48:49], s[16:17], v[179:180]
	v_mul_f64_e32 v[50:51], s[16:17], v[167:168]
	v_add_f64_e64 v[46:47], v[46:47], -v[203:204]
	scratch_load_b64 v[203:204], off, off offset:276 th:TH_LOAD_LU ; 8-byte Folded Reload
	v_add_f64_e32 v[36:37], v[36:37], v[52:53]
	v_add_f64_e32 v[38:39], v[38:39], v[54:55]
	v_mul_f64_e32 v[54:55], s[8:9], v[167:168]
	v_mul_f64_e32 v[52:53], s[8:9], v[179:180]
	v_add_f64_e32 v[48:49], v[201:202], v[48:49]
	v_add_f64_e64 v[50:51], v[50:51], -v[199:200]
	v_add_f64_e32 v[46:47], v[20:21], v[46:47]
	v_add_f64_e32 v[44:45], v[22:23], v[44:45]
	v_mul_f64_e32 v[199:200], s[24:25], v[157:158]
	v_mul_f64_e32 v[201:202], s[26:27], v[177:178]
	v_add_f64_e32 v[36:37], v[36:37], v[56:57]
	v_add_f64_e32 v[38:39], v[38:39], v[58:59]
	scratch_load_b64 v[58:59], off, off offset:212 th:TH_LOAD_LU ; 8-byte Folded Reload
	v_mul_f64_e32 v[56:57], s[6:7], v[179:180]
	v_add_f64_e64 v[54:55], v[54:55], -v[195:196]
	v_add_f64_e32 v[52:53], v[197:198], v[52:53]
	v_mul_f64_e32 v[195:196], s[56:57], v[177:178]
	v_mul_f64_e32 v[197:198], s[48:49], v[175:176]
	v_add_f64_e32 v[36:37], v[36:37], v[60:61]
	v_add_f64_e32 v[38:39], v[38:39], v[62:63]
	v_mul_f64_e32 v[60:61], s[40:41], v[171:172]
	v_mul_f64_e32 v[62:63], s[54:55], v[171:172]
	s_delay_alu instid0(VALU_DEP_4) | instskip(NEXT) | instid1(VALU_DEP_4)
	v_add_f64_e32 v[36:37], v[36:37], v[68:69]
	v_add_f64_e32 v[38:39], v[38:39], v[70:71]
	v_mul_f64_e32 v[70:71], s[6:7], v[167:168]
	s_delay_alu instid0(VALU_DEP_4)
	v_fma_f64 v[68:69], v[167:168], s[28:29], v[62:63]
	v_fma_f64 v[62:63], v[167:168], s[28:29], -v[62:63]
	v_add_f64_e32 v[36:37], v[36:37], v[72:73]
	scratch_load_b64 v[72:73], off, off offset:204 th:TH_LOAD_LU ; 8-byte Folded Reload
	v_add_f64_e32 v[38:39], v[38:39], v[74:75]
	v_add_f64_e32 v[68:69], v[20:21], v[68:69]
	;; [unrolled: 1-line block ×4, first 2 shown]
	s_delay_alu instid0(VALU_DEP_4)
	v_add_f64_e32 v[38:39], v[38:39], v[78:79]
	v_add_f64_e32 v[78:79], v[22:23], v[40:41]
	;; [unrolled: 1-line block ×3, first 2 shown]
	v_mul_f64_e32 v[48:49], s[30:31], v[108:109]
	v_add_f64_e32 v[36:37], v[36:37], v[80:81]
	v_add_f64_e32 v[80:81], v[20:21], v[42:43]
	;; [unrolled: 1-line block ×4, first 2 shown]
	v_fma_f64 v[50:51], v[112:113], s[36:37], v[48:49]
	s_wait_loadcnt 0x4
	v_add_f64_e64 v[207:208], v[207:208], -v[209:210]
	v_mul_f64_e32 v[209:210], s[20:21], v[88:89]
	v_add_f64_e32 v[36:37], v[36:37], v[84:85]
	v_add_f64_e32 v[38:39], v[38:39], v[86:87]
	s_delay_alu instid0(VALU_DEP_3) | instskip(SKIP_1) | instid1(VALU_DEP_4)
	v_add_f64_e64 v[209:210], v[209:210], -v[211:212]
	v_mul_f64_e32 v[211:212], s[28:29], v[96:97]
	v_add_f64_e32 v[36:37], v[36:37], v[64:65]
	s_delay_alu instid0(VALU_DEP_4) | instskip(SKIP_2) | instid1(VALU_DEP_4)
	v_add_f64_e32 v[38:39], v[38:39], v[66:67]
	v_fma_f64 v[66:67], v[167:168], s[30:31], v[60:61]
	v_fma_f64 v[60:61], v[167:168], s[30:31], -v[60:61]
	v_add_f64_e32 v[32:33], v[36:37], v[32:33]
	v_mul_f64_e32 v[36:37], s[28:29], v[179:180]
	v_add_f64_e32 v[34:35], v[38:39], v[34:35]
	v_add_f64_e32 v[66:67], v[20:21], v[66:67]
	;; [unrolled: 1-line block ×3, first 2 shown]
	s_wait_loadcnt 0x1
	v_add_f64_e32 v[56:57], v[58:59], v[56:57]
	v_mul_f64_e32 v[58:59], s[38:39], v[171:172]
	v_add_f64_e32 v[28:29], v[32:33], v[28:29]
	v_mul_f64_e32 v[32:33], s[30:31], v[179:180]
	v_add_f64_e32 v[30:31], v[34:35], v[30:31]
	v_fma_f64 v[38:39], v[183:184], s[52:53], v[36:37]
	v_fma_f64 v[36:37], v[183:184], s[54:55], v[36:37]
	v_add_f64_e32 v[82:83], v[22:23], v[56:57]
	v_fma_f64 v[64:65], v[167:168], s[34:35], v[58:59]
	v_fma_f64 v[58:59], v[167:168], s[34:35], -v[58:59]
	v_add_f64_e32 v[24:25], v[28:29], v[24:25]
	v_mul_f64_e32 v[28:29], s[34:35], v[179:180]
	v_fma_f64 v[34:35], v[183:184], s[36:37], v[32:33]
	v_fma_f64 v[32:33], v[183:184], s[40:41], v[32:33]
	v_add_f64_e32 v[26:27], v[30:31], v[26:27]
	v_add_f64_e32 v[74:75], v[22:23], v[38:39]
	;; [unrolled: 1-line block ×7, first 2 shown]
	v_fma_f64 v[30:31], v[183:184], s[46:47], v[28:29]
	v_fma_f64 v[28:29], v[183:184], s[38:39], v[28:29]
	v_add_f64_e32 v[34:35], v[22:23], v[34:35]
	v_mul_f64_e32 v[183:184], s[20:21], v[157:158]
	v_add_f64_e32 v[38:39], v[209:210], v[38:39]
	scratch_load_b64 v[209:210], off, off offset:244 th:TH_LOAD_LU ; 8-byte Folded Reload
	s_wait_loadcnt 0x1
	v_add_f64_e64 v[70:71], v[70:71], -v[72:73]
	v_add_f64_e32 v[72:73], v[22:23], v[32:33]
	v_mul_f64_e32 v[32:33], s[6:7], v[92:93]
	v_add_f64_e32 v[30:31], v[22:23], v[30:31]
	v_add_f64_e32 v[28:29], v[22:23], v[28:29]
	v_add_f64_e32 v[70:71], v[20:21], v[70:71]
	s_delay_alu instid0(VALU_DEP_4) | instskip(SKIP_1) | instid1(VALU_DEP_2)
	v_fma_f64 v[20:21], v[100:101], s[4:5], v[32:33]
	v_fma_f64 v[32:33], v[100:101], s[42:43], v[32:33]
	v_add_f64_e32 v[20:21], v[20:21], v[30:31]
	v_mul_f64_e32 v[30:31], s[42:43], v[102:103]
	s_delay_alu instid0(VALU_DEP_3)
	v_add_f64_e32 v[28:29], v[32:33], v[28:29]
	v_fma_f64 v[32:33], v[112:113], s[40:41], v[48:49]
	v_fma_f64 v[48:49], v[148:149], s[20:21], -v[195:196]
	v_add_f64_e32 v[20:21], v[50:51], v[20:21]
	v_fma_f64 v[22:23], v[88:89], s[6:7], v[30:31]
	v_mul_f64_e32 v[50:51], s[40:41], v[114:115]
	v_fma_f64 v[30:31], v[88:89], s[6:7], -v[30:31]
	v_add_f64_e32 v[28:29], v[32:33], v[28:29]
	s_delay_alu instid0(VALU_DEP_4) | instskip(NEXT) | instid1(VALU_DEP_4)
	v_add_f64_e32 v[22:23], v[22:23], v[64:65]
	v_fma_f64 v[52:53], v[96:97], s[30:31], v[50:51]
	s_delay_alu instid0(VALU_DEP_4)
	v_add_f64_e32 v[30:31], v[30:31], v[58:59]
	v_fma_f64 v[32:33], v[96:97], s[30:31], -v[50:51]
	v_mul_f64_e32 v[58:59], s[44:45], v[102:103]
	v_mul_f64_e32 v[50:51], s[30:31], v[128:129]
	v_add_f64_e32 v[22:23], v[52:53], v[22:23]
	v_mul_f64_e32 v[52:53], s[8:9], v[116:117]
	v_add_f64_e32 v[30:31], v[32:33], v[30:31]
	s_delay_alu instid0(VALU_DEP_4) | instskip(NEXT) | instid1(VALU_DEP_3)
	v_add_f64_e32 v[50:51], v[225:226], v[50:51]
	v_fma_f64 v[54:55], v[124:125], s[10:11], v[52:53]
	v_fma_f64 v[32:33], v[124:125], s[48:49], v[52:53]
	v_mul_f64_e32 v[52:53], s[34:35], v[116:117]
	s_delay_alu instid0(VALU_DEP_3) | instskip(SKIP_1) | instid1(VALU_DEP_4)
	v_add_f64_e32 v[20:21], v[54:55], v[20:21]
	v_mul_f64_e32 v[54:55], s[48:49], v[126:127]
	v_add_f64_e32 v[28:29], v[32:33], v[28:29]
	s_delay_alu instid0(VALU_DEP_2)
	v_fma_f64 v[56:57], v[104:105], s[8:9], v[54:55]
	v_fma_f64 v[32:33], v[104:105], s[8:9], -v[54:55]
	scratch_load_b64 v[54:55], off, off offset:348 th:TH_LOAD_LU ; 8-byte Folded Reload
	v_add_f64_e32 v[22:23], v[56:57], v[22:23]
	v_mul_f64_e32 v[56:57], s[28:29], v[128:129]
	v_add_f64_e32 v[30:31], v[32:33], v[30:31]
	s_delay_alu instid0(VALU_DEP_2) | instskip(SKIP_2) | instid1(VALU_DEP_3)
	v_fma_f64 v[64:65], v[142:143], s[52:53], v[56:57]
	v_fma_f64 v[32:33], v[142:143], s[54:55], v[56:57]
	v_mul_f64_e32 v[56:57], s[16:17], v[92:93]
	v_add_f64_e32 v[20:21], v[64:65], v[20:21]
	v_mul_f64_e32 v[64:65], s[54:55], v[140:141]
	s_delay_alu instid0(VALU_DEP_4) | instskip(NEXT) | instid1(VALU_DEP_2)
	v_add_f64_e32 v[28:29], v[32:33], v[28:29]
	v_fma_f64 v[84:85], v[120:121], s[28:29], v[64:65]
	v_fma_f64 v[32:33], v[120:121], s[28:29], -v[64:65]
	v_mul_f64_e32 v[64:65], s[20:21], v[108:109]
	s_delay_alu instid0(VALU_DEP_3) | instskip(SKIP_1) | instid1(VALU_DEP_4)
	v_add_f64_e32 v[22:23], v[84:85], v[22:23]
	v_mul_f64_e32 v[84:85], s[16:17], v[144:145]
	v_add_f64_e32 v[30:31], v[32:33], v[30:31]
	s_delay_alu instid0(VALU_DEP_2) | instskip(SKIP_2) | instid1(VALU_DEP_3)
	v_fma_f64 v[86:87], v[161:162], s[18:19], v[84:85]
	v_fma_f64 v[32:33], v[161:162], s[44:45], v[84:85]
	v_mul_f64_e32 v[84:85], s[28:29], v[116:117]
	v_add_f64_e32 v[20:21], v[86:87], v[20:21]
	v_mul_f64_e32 v[86:87], s[44:45], v[163:164]
	s_delay_alu instid0(VALU_DEP_4) | instskip(NEXT) | instid1(VALU_DEP_2)
	v_add_f64_e32 v[28:29], v[32:33], v[28:29]
	v_fma_f64 v[167:168], v[132:133], s[16:17], v[86:87]
	v_fma_f64 v[32:33], v[132:133], s[16:17], -v[86:87]
	v_mul_f64_e32 v[86:87], s[52:53], v[126:127]
	s_wait_loadcnt 0x0
	v_add_f64_e32 v[52:53], v[54:55], v[52:53]
	v_mul_f64_e32 v[54:55], s[28:29], v[108:109]
	v_add_f64_e32 v[22:23], v[167:168], v[22:23]
	v_mul_f64_e32 v[167:168], s[24:25], v[153:154]
	v_add_f64_e32 v[30:31], v[32:33], v[30:31]
	s_delay_alu instid0(VALU_DEP_4) | instskip(SKIP_1) | instid1(VALU_DEP_4)
	v_add_f64_e32 v[54:55], v[203:204], v[54:55]
	v_mul_f64_e32 v[203:204], s[20:21], v[92:93]
	v_fma_f64 v[171:172], v[165:166], s[50:51], v[167:168]
	v_fma_f64 v[32:33], v[165:166], s[26:27], v[167:168]
	v_mul_f64_e32 v[167:168], s[6:7], v[128:129]
	s_delay_alu instid0(VALU_DEP_4)
	v_add_f64_e32 v[203:204], v[205:206], v[203:204]
	v_mul_f64_e32 v[205:206], s[24:25], v[132:133]
	v_add_f64_e32 v[20:21], v[171:172], v[20:21]
	v_mul_f64_e32 v[171:172], s[26:27], v[175:176]
	v_add_f64_e32 v[28:29], v[32:33], v[28:29]
	v_add_f64_e32 v[36:37], v[203:204], v[36:37]
	v_add_f64_e64 v[205:206], v[205:206], -v[219:220]
	scratch_load_b64 v[219:220], off, off offset:236 th:TH_LOAD_LU ; 8-byte Folded Reload
	v_mul_f64_e32 v[203:204], s[34:35], v[104:105]
	v_fma_f64 v[32:33], v[136:137], s[24:25], -v[171:172]
	v_fma_f64 v[179:180], v[136:137], s[24:25], v[171:172]
	v_mul_f64_e32 v[171:172], s[4:5], v[140:141]
	v_add_f64_e32 v[36:37], v[54:55], v[36:37]
	v_mul_f64_e32 v[54:55], s[16:17], v[153:154]
	v_add_f64_e64 v[203:204], v[203:204], -v[209:210]
	v_add_f64_e32 v[32:33], v[32:33], v[30:31]
	v_fma_f64 v[30:31], v[173:174], s[56:57], v[183:184]
	v_add_f64_e32 v[179:180], v[179:180], v[22:23]
	v_fma_f64 v[22:23], v[173:174], s[22:23], v[183:184]
	v_mul_f64_e32 v[183:184], s[38:39], v[163:164]
	v_add_f64_e32 v[36:37], v[52:53], v[36:37]
	v_mul_f64_e32 v[52:53], s[16:17], v[136:137]
	v_add_f64_e32 v[54:55], v[213:214], v[54:55]
	v_add_f64_e32 v[30:31], v[30:31], v[28:29]
	;; [unrolled: 1-line block ×3, first 2 shown]
	v_fma_f64 v[32:33], v[100:101], s[18:19], v[56:57]
	v_fma_f64 v[48:49], v[112:113], s[56:57], v[64:65]
	v_add_f64_e32 v[22:23], v[22:23], v[20:21]
	v_fma_f64 v[20:21], v[148:149], s[20:21], v[195:196]
	v_mul_f64_e32 v[195:196], s[8:9], v[153:154]
	v_fma_f64 v[56:57], v[100:101], s[44:45], v[56:57]
	v_add_f64_e32 v[36:37], v[50:51], v[36:37]
	v_mul_f64_e32 v[50:51], s[6:7], v[157:158]
	v_add_f64_e32 v[32:33], v[32:33], v[34:35]
	v_fma_f64 v[34:35], v[88:89], s[16:17], v[58:59]
	v_fma_f64 v[58:59], v[88:89], s[16:17], -v[58:59]
	v_add_f64_e32 v[20:21], v[20:21], v[179:180]
	v_mul_f64_e32 v[179:180], s[34:35], v[144:145]
	v_add_f64_e32 v[56:57], v[56:57], v[72:73]
	v_add_f64_e32 v[50:51], v[215:216], v[50:51]
	;; [unrolled: 1-line block ×4, first 2 shown]
	v_mul_f64_e32 v[66:67], s[22:23], v[114:115]
	v_add_f64_e32 v[58:59], v[58:59], v[60:61]
	v_fma_f64 v[60:61], v[112:113], s[22:23], v[64:65]
	v_fma_f64 v[64:65], v[148:149], s[24:25], -v[201:202]
	s_delay_alu instid0(VALU_DEP_4) | instskip(NEXT) | instid1(VALU_DEP_3)
	v_fma_f64 v[48:49], v[96:97], s[20:21], v[66:67]
	v_add_f64_e32 v[56:57], v[60:61], v[56:57]
	v_fma_f64 v[60:61], v[96:97], s[20:21], -v[66:67]
	s_delay_alu instid0(VALU_DEP_3) | instskip(SKIP_1) | instid1(VALU_DEP_3)
	v_add_f64_e32 v[34:35], v[48:49], v[34:35]
	v_fma_f64 v[48:49], v[124:125], s[54:55], v[84:85]
	v_add_f64_e32 v[58:59], v[60:61], v[58:59]
	v_fma_f64 v[60:61], v[124:125], s[52:53], v[84:85]
	s_delay_alu instid0(VALU_DEP_3) | instskip(SKIP_1) | instid1(VALU_DEP_3)
	v_add_f64_e32 v[32:33], v[48:49], v[32:33]
	v_fma_f64 v[48:49], v[104:105], s[28:29], v[86:87]
	v_add_f64_e32 v[56:57], v[60:61], v[56:57]
	v_fma_f64 v[60:61], v[104:105], s[28:29], -v[86:87]
	scratch_load_b64 v[86:87], off, off offset:32 th:TH_LOAD_LU ; 8-byte Folded Reload
	s_wait_loadcnt 0x1
	v_add_f64_e64 v[211:212], v[211:212], -v[219:220]
	v_add_f64_e32 v[34:35], v[48:49], v[34:35]
	v_fma_f64 v[48:49], v[142:143], s[42:43], v[167:168]
	v_add_f64_e32 v[58:59], v[60:61], v[58:59]
	v_fma_f64 v[60:61], v[142:143], s[4:5], v[167:168]
	v_add_f64_e32 v[38:39], v[211:212], v[38:39]
	s_delay_alu instid0(VALU_DEP_4) | instskip(SKIP_1) | instid1(VALU_DEP_4)
	v_add_f64_e32 v[32:33], v[48:49], v[32:33]
	v_fma_f64 v[48:49], v[120:121], s[6:7], v[171:172]
	v_add_f64_e32 v[56:57], v[60:61], v[56:57]
	v_fma_f64 v[60:61], v[120:121], s[6:7], -v[171:172]
	v_add_f64_e32 v[38:39], v[203:204], v[38:39]
	scratch_load_b64 v[203:204], off, off offset:292 th:TH_LOAD_LU ; 8-byte Folded Reload
	v_add_f64_e32 v[34:35], v[48:49], v[34:35]
	v_fma_f64 v[48:49], v[161:162], s[46:47], v[179:180]
	v_add_f64_e32 v[58:59], v[60:61], v[58:59]
	v_fma_f64 v[60:61], v[161:162], s[38:39], v[179:180]
	v_add_f64_e32 v[38:39], v[207:208], v[38:39]
	scratch_load_b64 v[207:208], off, off offset:316 th:TH_LOAD_LU ; 8-byte Folded Reload
	v_add_f64_e32 v[32:33], v[48:49], v[32:33]
	v_fma_f64 v[48:49], v[132:133], s[34:35], v[183:184]
	v_add_f64_e32 v[56:57], v[60:61], v[56:57]
	v_fma_f64 v[60:61], v[132:133], s[34:35], -v[183:184]
	v_add_f64_e32 v[38:39], v[205:206], v[38:39]
	scratch_load_b64 v[205:206], off, off offset:260 th:TH_LOAD_LU ; 8-byte Folded Reload
	v_add_f64_e32 v[34:35], v[48:49], v[34:35]
	v_fma_f64 v[48:49], v[165:166], s[10:11], v[195:196]
	v_add_f64_e32 v[58:59], v[60:61], v[58:59]
	v_fma_f64 v[60:61], v[165:166], s[48:49], v[195:196]
	s_delay_alu instid0(VALU_DEP_3) | instskip(SKIP_1) | instid1(VALU_DEP_3)
	v_add_f64_e32 v[32:33], v[48:49], v[32:33]
	v_fma_f64 v[48:49], v[136:137], s[8:9], v[197:198]
	v_add_f64_e32 v[56:57], v[60:61], v[56:57]
	v_fma_f64 v[60:61], v[136:137], s[8:9], -v[197:198]
	s_delay_alu instid0(VALU_DEP_3) | instskip(SKIP_1) | instid1(VALU_DEP_3)
	v_add_f64_e32 v[48:49], v[48:49], v[34:35]
	v_fma_f64 v[34:35], v[173:174], s[50:51], v[199:200]
	v_add_f64_e32 v[60:61], v[60:61], v[58:59]
	v_fma_f64 v[58:59], v[173:174], s[26:27], v[199:200]
	s_delay_alu instid0(VALU_DEP_3) | instskip(SKIP_1) | instid1(VALU_DEP_3)
	v_add_f64_e32 v[34:35], v[34:35], v[32:33]
	v_fma_f64 v[32:33], v[148:149], s[24:25], v[201:202]
	v_add_f64_e32 v[58:59], v[58:59], v[56:57]
	v_add_f64_e32 v[56:57], v[64:65], v[60:61]
	s_delay_alu instid0(VALU_DEP_3) | instskip(SKIP_1) | instid1(VALU_DEP_1)
	v_add_f64_e32 v[32:33], v[32:33], v[48:49]
	v_mul_f64_e32 v[48:49], s[24:25], v[144:145]
	v_add_f64_e32 v[48:49], v[251:252], v[48:49]
	s_wait_loadcnt 0x2
	v_add_f64_e64 v[52:53], v[52:53], -v[203:204]
	scratch_load_b64 v[203:204], off, off offset:308 th:TH_LOAD_LU ; 8-byte Folded Reload
	v_add_f64_e32 v[36:37], v[48:49], v[36:37]
	v_mul_f64_e32 v[48:49], s[6:7], v[148:149]
	v_add_f64_e32 v[52:53], v[52:53], v[38:39]
	s_delay_alu instid0(VALU_DEP_3) | instskip(SKIP_1) | instid1(VALU_DEP_2)
	v_add_f64_e32 v[36:37], v[54:55], v[36:37]
	v_mul_f64_e32 v[54:55], s[34:35], v[108:109]
	v_add_f64_e32 v[38:39], v[50:51], v[36:37]
	v_mul_f64_e32 v[50:51], s[8:9], v[128:129]
	s_delay_alu instid0(VALU_DEP_3) | instskip(NEXT) | instid1(VALU_DEP_2)
	v_add_f64_e32 v[54:55], v[229:230], v[54:55]
	v_add_f64_e32 v[50:51], v[134:135], v[50:51]
	v_mul_f64_e32 v[134:135], s[28:29], v[92:93]
	s_wait_loadcnt 0x0
	v_add_f64_e64 v[48:49], v[48:49], -v[203:204]
	v_mul_f64_e32 v[203:204], s[28:29], v[88:89]
	s_delay_alu instid0(VALU_DEP_2) | instskip(SKIP_1) | instid1(VALU_DEP_3)
	v_add_f64_e32 v[36:37], v[48:49], v[52:53]
	v_mul_f64_e32 v[48:49], s[6:7], v[144:145]
	v_add_f64_e64 v[203:204], v[203:204], -v[205:206]
	v_mul_f64_e32 v[205:206], s[34:35], v[96:97]
	v_mul_f64_e32 v[52:53], s[24:25], v[116:117]
	s_delay_alu instid0(VALU_DEP_4)
	v_add_f64_e32 v[48:49], v[181:182], v[48:49]
	scratch_load_b64 v[181:182], off, off offset:340 th:TH_LOAD_LU ; 8-byte Folded Reload
	v_add_f64_e32 v[42:43], v[203:204], v[42:43]
	scratch_load_b64 v[203:204], off, off offset:332 th:TH_LOAD_LU ; 8-byte Folded Reload
	v_add_f64_e64 v[205:206], v[205:206], -v[207:208]
	v_add_f64_e32 v[52:53], v[243:244], v[52:53]
	s_delay_alu instid0(VALU_DEP_2) | instskip(SKIP_3) | instid1(VALU_DEP_2)
	v_add_f64_e32 v[42:43], v[205:206], v[42:43]
	s_wait_loadcnt 0x1
	v_add_f64_e32 v[134:135], v[181:182], v[134:135]
	v_mul_f64_e32 v[181:182], s[6:7], v[132:133]
	v_add_f64_e32 v[40:41], v[134:135], v[40:41]
	v_mul_f64_e32 v[134:135], s[24:25], v[104:105]
	s_delay_alu instid0(VALU_DEP_3) | instskip(SKIP_1) | instid1(VALU_DEP_4)
	v_add_f64_e64 v[98:99], v[181:182], -v[98:99]
	v_mul_f64_e32 v[181:182], s[8:9], v[120:121]
	v_add_f64_e32 v[40:41], v[54:55], v[40:41]
	s_wait_loadcnt 0x0
	s_delay_alu instid0(VALU_DEP_4) | instskip(SKIP_1) | instid1(VALU_DEP_4)
	v_add_f64_e64 v[134:135], v[134:135], -v[203:204]
	v_mul_f64_e32 v[54:55], s[20:21], v[153:154]
	v_add_f64_e64 v[181:182], v[181:182], -v[237:238]
	s_delay_alu instid0(VALU_DEP_4) | instskip(NEXT) | instid1(VALU_DEP_4)
	v_add_f64_e32 v[40:41], v[52:53], v[40:41]
	v_add_f64_e32 v[42:43], v[134:135], v[42:43]
	v_mul_f64_e32 v[52:53], s[20:21], v[136:137]
	v_add_f64_e32 v[54:55], v[245:246], v[54:55]
	v_mul_f64_e32 v[134:135], s[16:17], v[120:121]
	v_add_f64_e32 v[40:41], v[50:51], v[40:41]
	v_add_f64_e32 v[42:43], v[181:182], v[42:43]
	v_add_f64_e64 v[52:53], v[52:53], -v[233:234]
	v_mul_f64_e32 v[50:51], s[30:31], v[157:158]
	v_add_f64_e64 v[94:95], v[134:135], -v[94:95]
	v_mul_f64_e32 v[134:135], s[34:35], v[88:89]
	v_add_f64_e32 v[40:41], v[48:49], v[40:41]
	v_add_f64_e32 v[42:43], v[98:99], v[42:43]
	v_mul_f64_e32 v[48:49], s[30:31], v[148:149]
	v_add_f64_e32 v[50:51], v[241:242], v[50:51]
	v_mul_f64_e32 v[98:99], s[34:35], v[92:93]
	v_add_f64_e32 v[40:41], v[54:55], v[40:41]
	v_add_f64_e32 v[52:53], v[52:53], v[42:43]
	v_add_f64_e64 v[48:49], v[48:49], -v[227:228]
	v_mul_f64_e32 v[54:55], s[24:25], v[108:109]
	v_add_f64_e32 v[98:99], v[231:232], v[98:99]
	v_add_f64_e32 v[42:43], v[50:51], v[40:41]
	v_mul_f64_e32 v[50:51], s[16:17], v[128:129]
	v_add_f64_e32 v[40:41], v[48:49], v[52:53]
	v_mul_f64_e32 v[52:53], s[6:7], v[116:117]
	v_add_f64_e32 v[54:55], v[249:250], v[54:55]
	v_add_f64_e32 v[44:45], v[98:99], v[44:45]
	v_mul_f64_e32 v[98:99], s[6:7], v[104:105]
	v_mul_f64_e32 v[48:49], s[30:31], v[144:145]
	v_add_f64_e32 v[50:51], v[155:156], v[50:51]
	v_add_f64_e32 v[52:53], v[110:111], v[52:53]
	v_mul_f64_e32 v[110:111], s[30:31], v[132:133]
	v_add_f64_e32 v[44:45], v[54:55], v[44:45]
	v_add_f64_e64 v[98:99], v[98:99], -v[223:224]
	v_add_f64_e32 v[48:49], v[189:190], v[48:49]
	v_mul_f64_e32 v[54:55], s[28:29], v[153:154]
	v_add_f64_e64 v[110:111], v[110:111], -v[146:147]
	scratch_load_b64 v[146:147], off, off offset:324 th:TH_LOAD_LU ; 8-byte Folded Reload
	v_add_f64_e32 v[44:45], v[52:53], v[44:45]
	v_mul_f64_e32 v[52:53], s[28:29], v[136:137]
	v_add_f64_e32 v[54:55], v[118:119], v[54:55]
	s_delay_alu instid0(VALU_DEP_3) | instskip(SKIP_1) | instid1(VALU_DEP_4)
	v_add_f64_e32 v[44:45], v[50:51], v[44:45]
	v_mul_f64_e32 v[50:51], s[8:9], v[157:158]
	v_add_f64_e64 v[52:53], v[52:53], -v[90:91]
	v_mul_f64_e32 v[90:91], s[30:31], v[92:93]
	s_delay_alu instid0(VALU_DEP_4) | instskip(NEXT) | instid1(VALU_DEP_4)
	v_add_f64_e32 v[44:45], v[48:49], v[44:45]
	v_add_f64_e32 v[50:51], v[106:107], v[50:51]
	v_mul_f64_e32 v[48:49], s[8:9], v[148:149]
	v_mul_f64_e32 v[106:107], s[30:31], v[88:89]
	v_add_f64_e32 v[90:91], v[253:254], v[90:91]
	v_add_f64_e32 v[44:45], v[54:55], v[44:45]
	v_mul_f64_e32 v[54:55], s[8:9], v[108:109]
	v_add_f64_e64 v[48:49], v[48:49], -v[247:248]
	v_add_f64_e64 v[106:107], v[106:107], -v[221:222]
	v_add_f64_e32 v[78:79], v[90:91], v[78:79]
	v_mul_f64_e32 v[90:91], s[16:17], v[104:105]
	v_add_f64_e32 v[54:55], v[130:131], v[54:55]
	v_mul_f64_e32 v[130:131], s[16:17], v[157:158]
	v_add_f64_e32 v[80:81], v[106:107], v[80:81]
	s_delay_alu instid0(VALU_DEP_4) | instskip(NEXT) | instid1(VALU_DEP_4)
	v_add_f64_e64 v[90:91], v[90:91], -v[239:240]
	v_add_f64_e32 v[54:55], v[54:55], v[78:79]
	s_delay_alu instid0(VALU_DEP_4) | instskip(SKIP_3) | instid1(VALU_DEP_2)
	v_fma_f64 v[84:85], v[173:174], s[18:19], v[130:131]
	s_wait_loadcnt 0x0
	v_add_f64_e64 v[134:135], v[134:135], -v[146:147]
	v_mul_f64_e32 v[146:147], s[24:25], v[96:97]
	v_add_f64_e32 v[46:47], v[134:135], v[46:47]
	s_delay_alu instid0(VALU_DEP_2) | instskip(NEXT) | instid1(VALU_DEP_1)
	v_add_f64_e64 v[146:147], v[146:147], -v[217:218]
	v_add_f64_e32 v[46:47], v[146:147], v[46:47]
	s_delay_alu instid0(VALU_DEP_1) | instskip(SKIP_1) | instid1(VALU_DEP_2)
	v_add_f64_e32 v[46:47], v[98:99], v[46:47]
	v_mul_f64_e32 v[98:99], s[34:35], v[120:121]
	v_add_f64_e32 v[46:47], v[94:95], v[46:47]
	v_mul_f64_e32 v[94:95], s[20:21], v[132:133]
	s_delay_alu instid0(VALU_DEP_3) | instskip(NEXT) | instid1(VALU_DEP_3)
	v_add_f64_e64 v[98:99], v[98:99], -v[150:151]
	v_add_f64_e32 v[46:47], v[110:111], v[46:47]
	v_mul_f64_e32 v[110:111], s[8:9], v[96:97]
	s_delay_alu instid0(VALU_DEP_4) | instskip(NEXT) | instid1(VALU_DEP_3)
	v_add_f64_e64 v[94:95], v[94:95], -v[187:188]
	v_add_f64_e32 v[52:53], v[52:53], v[46:47]
	v_add_f64_e32 v[46:47], v[50:51], v[44:45]
	s_delay_alu instid0(VALU_DEP_4) | instskip(SKIP_1) | instid1(VALU_DEP_4)
	v_add_f64_e64 v[110:111], v[110:111], -v[235:236]
	v_mul_f64_e32 v[50:51], s[34:35], v[128:129]
	v_add_f64_e32 v[44:45], v[48:49], v[52:53]
	v_mul_f64_e32 v[52:53], s[16:17], v[116:117]
	s_delay_alu instid0(VALU_DEP_4) | instskip(SKIP_4) | instid1(VALU_DEP_4)
	v_add_f64_e32 v[78:79], v[110:111], v[80:81]
	v_mul_f64_e32 v[48:49], s[20:21], v[144:145]
	v_add_f64_e32 v[50:51], v[191:192], v[50:51]
	v_mul_f64_e32 v[80:81], s[6:7], v[153:154]
	v_add_f64_e32 v[52:53], v[169:170], v[52:53]
	v_add_f64_e32 v[48:49], v[193:194], v[48:49]
	s_delay_alu instid0(VALU_DEP_3) | instskip(NEXT) | instid1(VALU_DEP_3)
	v_add_f64_e32 v[80:81], v[185:186], v[80:81]
	v_add_f64_e32 v[52:53], v[52:53], v[54:55]
	v_add_f64_e32 v[54:55], v[90:91], v[78:79]
	v_mul_f64_e32 v[78:79], s[6:7], v[136:137]
	s_delay_alu instid0(VALU_DEP_3) | instskip(NEXT) | instid1(VALU_DEP_3)
	v_add_f64_e32 v[50:51], v[50:51], v[52:53]
	v_add_f64_e32 v[52:53], v[98:99], v[54:55]
	s_delay_alu instid0(VALU_DEP_3) | instskip(SKIP_1) | instid1(VALU_DEP_4)
	v_add_f64_e64 v[78:79], v[78:79], -v[138:139]
	v_mul_f64_e32 v[54:55], s[28:29], v[157:158]
	v_add_f64_e32 v[48:49], v[48:49], v[50:51]
	s_delay_alu instid0(VALU_DEP_4) | instskip(SKIP_1) | instid1(VALU_DEP_4)
	v_add_f64_e32 v[50:51], v[94:95], v[52:53]
	v_mul_f64_e32 v[52:53], s[28:29], v[148:149]
	v_add_f64_e32 v[54:55], v[159:160], v[54:55]
	s_delay_alu instid0(VALU_DEP_4) | instskip(NEXT) | instid1(VALU_DEP_4)
	v_add_f64_e32 v[48:49], v[80:81], v[48:49]
	v_add_f64_e32 v[78:79], v[78:79], v[50:51]
	s_delay_alu instid0(VALU_DEP_4) | instskip(NEXT) | instid1(VALU_DEP_3)
	v_add_f64_e64 v[52:53], v[52:53], -v[122:123]
	v_add_f64_e32 v[50:51], v[54:55], v[48:49]
	s_delay_alu instid0(VALU_DEP_2) | instskip(SKIP_1) | instid1(VALU_DEP_1)
	v_add_f64_e32 v[48:49], v[52:53], v[78:79]
	v_mul_f64_e32 v[78:79], s[24:25], v[92:93]
	v_fma_f64 v[52:53], v[100:101], s[50:51], v[78:79]
	v_fma_f64 v[60:61], v[100:101], s[26:27], v[78:79]
	s_delay_alu instid0(VALU_DEP_2) | instskip(SKIP_1) | instid1(VALU_DEP_3)
	v_add_f64_e32 v[52:53], v[52:53], v[76:77]
	v_mul_f64_e32 v[76:77], s[50:51], v[102:103]
	v_add_f64_e32 v[60:61], v[60:61], v[74:75]
	s_delay_alu instid0(VALU_DEP_2)
	v_fma_f64 v[54:55], v[88:89], s[24:25], -v[76:77]
	v_fma_f64 v[74:75], v[88:89], s[24:25], v[76:77]
	scratch_load_b64 v[76:77], off, off offset:16 th:TH_LOAD_LU ; 8-byte Folded Reload
	v_add_f64_e32 v[54:55], v[54:55], v[62:63]
	v_mul_f64_e32 v[62:63], s[6:7], v[108:109]
	v_add_f64_e32 v[68:69], v[74:75], v[68:69]
	scratch_load_b64 v[74:75], off, off offset:64 th:TH_LOAD_LU ; 8-byte Folded Reload
	v_fma_f64 v[80:81], v[112:113], s[4:5], v[62:63]
	v_fma_f64 v[62:63], v[112:113], s[42:43], v[62:63]
	s_delay_alu instid0(VALU_DEP_2) | instskip(SKIP_1) | instid1(VALU_DEP_3)
	v_add_f64_e32 v[52:53], v[80:81], v[52:53]
	v_mul_f64_e32 v[80:81], s[4:5], v[114:115]
	v_add_f64_e32 v[60:61], v[62:63], v[60:61]
	s_delay_alu instid0(VALU_DEP_2)
	v_fma_f64 v[90:91], v[96:97], s[6:7], -v[80:81]
	v_fma_f64 v[62:63], v[96:97], s[6:7], v[80:81]
	scratch_load_b64 v[80:81], off, off offset:96 th:TH_LOAD_LU ; 8-byte Folded Reload
	v_add_f64_e32 v[54:55], v[90:91], v[54:55]
	v_mul_f64_e32 v[90:91], s[30:31], v[116:117]
	v_add_f64_e32 v[62:63], v[62:63], v[68:69]
	s_delay_alu instid0(VALU_DEP_2) | instskip(SKIP_1) | instid1(VALU_DEP_2)
	v_fma_f64 v[94:95], v[124:125], s[40:41], v[90:91]
	v_fma_f64 v[78:79], v[124:125], s[36:37], v[90:91]
	v_add_f64_e32 v[52:53], v[94:95], v[52:53]
	v_mul_f64_e32 v[94:95], s[40:41], v[126:127]
	s_delay_alu instid0(VALU_DEP_3) | instskip(SKIP_4) | instid1(VALU_DEP_2)
	v_add_f64_e32 v[60:61], v[78:79], v[60:61]
	v_mul_f64_e32 v[126:127], s[44:45], v[177:178]
	scratch_load_b64 v[78:79], off, off offset:128 th:TH_LOAD_LU ; 8-byte Folded Reload
	v_fma_f64 v[98:99], v[104:105], s[30:31], -v[94:95]
	v_fma_f64 v[68:69], v[104:105], s[30:31], v[94:95]
	v_add_f64_e32 v[54:55], v[98:99], v[54:55]
	v_mul_f64_e32 v[98:99], s[20:21], v[128:129]
	s_delay_alu instid0(VALU_DEP_3) | instskip(NEXT) | instid1(VALU_DEP_2)
	v_add_f64_e32 v[62:63], v[68:69], v[62:63]
	v_fma_f64 v[102:103], v[142:143], s[56:57], v[98:99]
	v_fma_f64 v[72:73], v[142:143], s[22:23], v[98:99]
	s_delay_alu instid0(VALU_DEP_2) | instskip(SKIP_1) | instid1(VALU_DEP_3)
	v_add_f64_e32 v[52:53], v[102:103], v[52:53]
	v_mul_f64_e32 v[102:103], s[56:57], v[140:141]
	v_add_f64_e32 v[60:61], v[72:73], v[60:61]
	scratch_load_b64 v[72:73], off, off offset:80 th:TH_LOAD_LU ; 8-byte Folded Reload
	v_fma_f64 v[106:107], v[120:121], s[20:21], -v[102:103]
	v_fma_f64 v[68:69], v[120:121], s[20:21], v[102:103]
	s_delay_alu instid0(VALU_DEP_2) | instskip(SKIP_1) | instid1(VALU_DEP_3)
	v_add_f64_e32 v[54:55], v[106:107], v[54:55]
	v_mul_f64_e32 v[106:107], s[8:9], v[144:145]
	v_add_f64_e32 v[62:63], v[68:69], v[62:63]
	scratch_load_b64 v[68:69], off, off offset:112 th:TH_LOAD_LU ; 8-byte Folded Reload
	v_fma_f64 v[110:111], v[161:162], s[10:11], v[106:107]
	v_fma_f64 v[66:67], v[161:162], s[48:49], v[106:107]
	s_delay_alu instid0(VALU_DEP_2) | instskip(SKIP_1) | instid1(VALU_DEP_3)
	v_add_f64_e32 v[52:53], v[110:111], v[52:53]
	v_mul_f64_e32 v[110:111], s[10:11], v[163:164]
	v_add_f64_e32 v[60:61], v[66:67], v[60:61]
	s_delay_alu instid0(VALU_DEP_2) | instskip(SKIP_1) | instid1(VALU_DEP_2)
	v_fma_f64 v[114:115], v[132:133], s[8:9], -v[110:111]
	v_fma_f64 v[66:67], v[132:133], s[8:9], v[110:111]
	v_add_f64_e32 v[54:55], v[114:115], v[54:55]
	v_mul_f64_e32 v[114:115], s[34:35], v[153:154]
	s_delay_alu instid0(VALU_DEP_3) | instskip(SKIP_1) | instid1(VALU_DEP_3)
	v_add_f64_e32 v[62:63], v[66:67], v[62:63]
	v_fma_f64 v[66:67], v[148:149], s[16:17], v[126:127]
	v_fma_f64 v[118:119], v[165:166], s[38:39], v[114:115]
	;; [unrolled: 1-line block ×3, first 2 shown]
	s_delay_alu instid0(VALU_DEP_2) | instskip(SKIP_1) | instid1(VALU_DEP_3)
	v_add_f64_e32 v[52:53], v[118:119], v[52:53]
	v_mul_f64_e32 v[118:119], s[38:39], v[175:176]
	v_add_f64_e32 v[60:61], v[64:65], v[60:61]
	s_delay_alu instid0(VALU_DEP_2) | instskip(SKIP_1) | instid1(VALU_DEP_2)
	v_fma_f64 v[64:65], v[136:137], s[34:35], v[118:119]
	v_fma_f64 v[122:123], v[136:137], s[34:35], -v[118:119]
	v_add_f64_e32 v[64:65], v[64:65], v[62:63]
	s_delay_alu instid0(VALU_DEP_4)
	v_add_f64_e32 v[62:63], v[84:85], v[60:61]
	scratch_load_b64 v[84:85], off, off offset:8 th:TH_LOAD_LU ; 8-byte Folded Reload
	v_add_f64_e32 v[122:123], v[122:123], v[54:55]
	v_fma_f64 v[54:55], v[173:174], s[44:45], v[130:131]
	v_add_f64_e32 v[60:61], v[66:67], v[64:65]
	scratch_load_b64 v[66:67], off, off offset:156 th:TH_LOAD_LU ; 8-byte Folded Reload
	v_mul_f64_e32 v[64:65], s[28:29], v[144:145]
	v_add_f64_e32 v[54:55], v[54:55], v[52:53]
	v_fma_f64 v[52:53], v[148:149], s[16:17], -v[126:127]
	s_delay_alu instid0(VALU_DEP_1) | instskip(SKIP_1) | instid1(VALU_DEP_4)
	v_add_f64_e32 v[52:53], v[52:53], v[122:123]
	s_wait_loadcnt 0x0
	v_add_f64_e32 v[64:65], v[66:67], v[64:65]
	v_mul_f64_e32 v[66:67], s[24:25], v[128:129]
	s_delay_alu instid0(VALU_DEP_1) | instskip(SKIP_1) | instid1(VALU_DEP_1)
	v_add_f64_e32 v[66:67], v[68:69], v[66:67]
	v_mul_f64_e32 v[68:69], s[20:21], v[116:117]
	v_add_f64_e32 v[68:69], v[72:73], v[68:69]
	v_mul_f64_e32 v[72:73], s[16:17], v[108:109]
	s_delay_alu instid0(VALU_DEP_1) | instskip(SKIP_1) | instid1(VALU_DEP_1)
	v_add_f64_e32 v[72:73], v[74:75], v[72:73]
	v_mul_f64_e32 v[74:75], s[8:9], v[92:93]
	v_add_f64_e32 v[74:75], v[76:77], v[74:75]
	v_mul_f64_e32 v[76:77], s[28:29], v[132:133]
	s_delay_alu instid0(VALU_DEP_2)
	v_add_f64_e32 v[74:75], v[74:75], v[82:83]
	scratch_load_b64 v[82:83], off, off offset:48 th:TH_LOAD_LU ; 8-byte Folded Reload
	v_add_f64_e64 v[76:77], v[76:77], -v[78:79]
	v_mul_f64_e32 v[78:79], s[24:25], v[120:121]
	v_add_f64_e32 v[72:73], v[72:73], v[74:75]
	v_mul_f64_e32 v[74:75], s[30:31], v[153:154]
	s_delay_alu instid0(VALU_DEP_3) | instskip(SKIP_1) | instid1(VALU_DEP_4)
	v_add_f64_e64 v[78:79], v[78:79], -v[80:81]
	v_mul_f64_e32 v[80:81], s[8:9], v[88:89]
	v_add_f64_e32 v[68:69], v[68:69], v[72:73]
	v_mul_f64_e32 v[72:73], s[30:31], v[136:137]
	s_delay_alu instid0(VALU_DEP_3) | instskip(SKIP_1) | instid1(VALU_DEP_4)
	v_add_f64_e64 v[80:81], v[80:81], -v[84:85]
	v_mul_f64_e32 v[84:85], s[16:17], v[96:97]
	v_add_f64_e32 v[66:67], v[66:67], v[68:69]
	s_delay_alu instid0(VALU_DEP_3) | instskip(NEXT) | instid1(VALU_DEP_3)
	v_add_f64_e32 v[70:71], v[80:81], v[70:71]
	v_add_f64_e64 v[84:85], v[84:85], -v[86:87]
	v_mul_f64_e32 v[80:81], s[20:21], v[104:105]
	s_delay_alu instid0(VALU_DEP_4) | instskip(NEXT) | instid1(VALU_DEP_3)
	v_add_f64_e32 v[64:65], v[64:65], v[66:67]
	v_add_f64_e32 v[70:71], v[84:85], v[70:71]
	s_wait_loadcnt 0x0
	s_delay_alu instid0(VALU_DEP_3)
	v_add_f64_e64 v[80:81], v[80:81], -v[82:83]
	scratch_load_b64 v[82:83], off, off offset:188 th:TH_LOAD_LU ; 8-byte Folded Reload
	v_add_f64_e32 v[70:71], v[80:81], v[70:71]
	scratch_load_b64 v[80:81], off, off offset:140 th:TH_LOAD_LU ; 8-byte Folded Reload
	v_add_f64_e32 v[68:69], v[78:79], v[70:71]
	scratch_load_b64 v[78:79], off, off offset:196 th:TH_LOAD_LU ; 8-byte Folded Reload
	v_mul_f64_e32 v[70:71], s[34:35], v[157:158]
	v_add_f64_e32 v[66:67], v[76:77], v[68:69]
	scratch_load_b64 v[76:77], off, off offset:172 th:TH_LOAD_LU ; 8-byte Folded Reload
	v_mul_f64_e32 v[68:69], s[34:35], v[148:149]
	s_wait_loadcnt 0x3
	v_add_f64_e32 v[74:75], v[82:83], v[74:75]
	s_wait_loadcnt 0x2
	v_add_f64_e64 v[72:73], v[72:73], -v[80:81]
	s_delay_alu instid0(VALU_DEP_2) | instskip(SKIP_2) | instid1(VALU_DEP_3)
	v_add_f64_e32 v[64:65], v[74:75], v[64:65]
	s_wait_loadcnt 0x1
	v_add_f64_e32 v[70:71], v[78:79], v[70:71]
	v_add_f64_e32 v[72:73], v[72:73], v[66:67]
	s_wait_loadcnt 0x0
	v_add_f64_e64 v[68:69], v[68:69], -v[76:77]
	s_delay_alu instid0(VALU_DEP_3) | instskip(NEXT) | instid1(VALU_DEP_2)
	v_add_f64_e32 v[66:67], v[70:71], v[64:65]
	v_add_f64_e32 v[64:65], v[68:69], v[72:73]
	v_mul_lo_u16 v68, v152, 17
	s_delay_alu instid0(VALU_DEP_1) | instskip(NEXT) | instid1(VALU_DEP_1)
	v_and_b32_e32 v68, 0xffff, v68
	v_lshlrev_b32_e32 v68, 4, v68
	ds_store_b128 v68, v[36:39] offset:32
	ds_store_b128 v68, v[40:43] offset:48
	;; [unrolled: 1-line block ×15, first 2 shown]
	ds_store_b128 v68, v[24:27]
	ds_store_b128 v68, v[0:3] offset:256
.LBB0_7:
	s_or_b32 exec_lo, exec_lo, s33
	v_and_b32_e32 v20, 0xff, v152
	v_add_nc_u16 v21, v152, 51
	v_add_nc_u16 v22, v152, 0x66
	s_load_b128 s[4:7], s[2:3], 0x0
	global_wb scope:SCOPE_SE
	s_wait_dscnt 0x0
	v_mul_lo_u16 v20, 0xf1, v20
	v_and_b32_e32 v23, 0xff, v21
	v_and_b32_e32 v24, 0xff, v22
	s_wait_kmcnt 0x0
	s_barrier_signal -1
	s_barrier_wait -1
	v_lshrrev_b16 v32, 12, v20
	v_add_nc_u16 v20, v152, 0x99
	v_mul_lo_u16 v23, 0xf1, v23
	v_mul_lo_u16 v24, 0xf1, v24
	global_inv scope:SCOPE_SE
	v_mul_lo_u16 v25, v32, 17
	v_and_b32_e32 v26, 0xff, v20
	v_lshrrev_b16 v33, 12, v23
	v_lshrrev_b16 v35, 12, v24
	s_mov_b32 s8, 0xe8584caa
	v_sub_nc_u16 v34, v152, v25
	v_mul_lo_u16 v23, 0xf1, v26
	v_mul_lo_u16 v24, v33, 17
	s_mov_b32 s9, 0x3febb67a
	s_mov_b32 s3, 0xbfebb67a
	v_lshlrev_b16 v25, 1, v34
	v_lshrrev_b16 v36, 12, v23
	v_mul_lo_u16 v23, v35, 17
	v_sub_nc_u16 v21, v21, v24
	s_wait_alu 0xfffe
	s_mov_b32 s2, s8
	v_and_b32_e32 v24, 0xfe, v25
	v_mul_lo_u16 v25, v36, 17
	v_sub_nc_u16 v22, v22, v23
	v_and_b32_e32 v37, 0xff, v21
	v_mad_u16 v32, v32, 51, v34
	v_lshlrev_b32_e32 v21, 4, v24
	v_sub_nc_u16 v20, v20, v25
	v_and_b32_e32 v38, 0xff, v22
	v_lshlrev_b32_e32 v22, 5, v37
	v_and_b32_e32 v33, 0xffff, v33
	s_clause 0x1
	global_load_b128 v[237:240], v21, s[0:1]
	global_load_b128 v[241:244], v21, s[0:1] offset:16
	v_and_b32_e32 v39, 0xff, v20
	v_lshlrev_b32_e32 v20, 5, v38
	s_clause 0x1
	global_load_b128 v[250:253], v22, s[0:1]
	global_load_b128 v[229:232], v22, s[0:1] offset:16
	v_and_b32_e32 v34, 0xffff, v35
	v_and_b32_e32 v35, 0xffff, v36
	v_lshlrev_b32_e32 v21, 5, v39
	v_and_b32_e32 v32, 0xff, v32
	s_clause 0x3
	global_load_b128 v[233:236], v20, s[0:1]
	global_load_b128 v[60:63], v20, s[0:1] offset:16
	global_load_b128 v[40:43], v21, s[0:1]
	global_load_b128 v[245:248], v21, s[0:1] offset:16
	v_and_b32_e32 v20, 0xffff, v152
	v_mul_u32_u24_e32 v33, 51, v33
	v_mul_u32_u24_e32 v34, 51, v34
	;; [unrolled: 1-line block ×3, first 2 shown]
	v_lshlrev_b32_e32 v32, 4, v32
	v_lshlrev_b32_e32 v159, 4, v20
	v_add_lshl_u32 v254, v33, v37, 4
	v_add_lshl_u32 v249, v34, v38, 4
	ds_load_b128 v[20:23], v159 offset:3264
	ds_load_b128 v[24:27], v159 offset:6528
	;; [unrolled: 1-line block ×8, first 2 shown]
	v_add_lshl_u32 v164, v35, v39, 4
	s_wait_loadcnt_dscnt 0x707
	v_mul_f64_e32 v[84:85], v[22:23], v[239:240]
	v_mul_f64_e32 v[86:87], v[20:21], v[239:240]
	s_wait_loadcnt_dscnt 0x606
	v_mul_f64_e32 v[88:89], v[26:27], v[243:244]
	v_mul_f64_e32 v[90:91], v[24:25], v[243:244]
	;; [unrolled: 3-line block ×8, first 2 shown]
	scratch_store_b128 off, v[40:43], off offset:16 ; 16-byte Folded Spill
	v_fma_f64 v[84:85], v[20:21], v[237:238], -v[84:85]
	v_fma_f64 v[86:87], v[22:23], v[237:238], v[86:87]
	v_fma_f64 v[88:89], v[24:25], v[241:242], -v[88:89]
	v_fma_f64 v[90:91], v[26:27], v[241:242], v[90:91]
	;; [unrolled: 2-line block ×8, first 2 shown]
	ds_load_b128 v[20:23], v159
	ds_load_b128 v[24:27], v159 offset:816
	ds_load_b128 v[28:31], v159 offset:1632
	;; [unrolled: 1-line block ×3, first 2 shown]
	global_wb scope:SCOPE_SE
	s_wait_storecnt_dscnt 0x0
	s_barrier_signal -1
	s_barrier_wait -1
	global_inv scope:SCOPE_SE
	v_add_f64_e32 v[116:117], v[20:21], v[84:85]
	v_add_f64_e32 v[100:101], v[84:85], v[88:89]
	;; [unrolled: 1-line block ×3, first 2 shown]
	v_add_f64_e64 v[118:119], v[86:87], -v[90:91]
	v_add_f64_e32 v[86:87], v[22:23], v[86:87]
	v_add_f64_e32 v[104:105], v[92:93], v[96:97]
	;; [unrolled: 1-line block ×3, first 2 shown]
	v_add_f64_e64 v[84:85], v[84:85], -v[88:89]
	v_add_f64_e32 v[126:127], v[30:31], v[70:71]
	v_add_f64_e32 v[108:109], v[68:69], v[72:73]
	;; [unrolled: 1-line block ×8, first 2 shown]
	v_add_f64_e64 v[94:95], v[94:95], -v[98:99]
	v_add_f64_e64 v[92:93], v[92:93], -v[96:97]
	v_add_f64_e32 v[130:131], v[66:67], v[78:79]
	v_add_f64_e32 v[124:125], v[28:29], v[68:69]
	v_add_f64_e64 v[132:133], v[70:71], -v[74:75]
	v_add_f64_e64 v[134:135], v[68:69], -v[72:73]
	;; [unrolled: 1-line block ×4, first 2 shown]
	v_fma_f64 v[100:101], v[100:101], -0.5, v[20:21]
	v_fma_f64 v[102:103], v[102:103], -0.5, v[22:23]
	v_add_f64_e32 v[20:21], v[116:117], v[88:89]
	v_add_f64_e32 v[22:23], v[86:87], v[90:91]
	v_fma_f64 v[104:105], v[104:105], -0.5, v[24:25]
	v_fma_f64 v[106:107], v[106:107], -0.5, v[26:27]
	v_fma_f64 v[108:109], v[108:109], -0.5, v[28:29]
	v_fma_f64 v[110:111], v[110:111], -0.5, v[30:31]
	v_add_f64_e32 v[30:31], v[126:127], v[74:75]
	v_add_f64_e32 v[24:25], v[120:121], v[96:97]
	v_fma_f64 v[112:113], v[112:113], -0.5, v[64:65]
	v_fma_f64 v[114:115], v[114:115], -0.5, v[66:67]
	v_add_f64_e32 v[26:27], v[122:123], v[98:99]
	v_add_f64_e32 v[64:65], v[128:129], v[80:81]
	;; [unrolled: 1-line block ×4, first 2 shown]
	v_mad_co_u64_u32 v[72:73], null, 0x50, v152, s[0:1]
	s_wait_alu 0xfffe
	v_fma_f64 v[74:75], v[118:119], s[2:3], v[100:101]
	v_fma_f64 v[76:77], v[84:85], s[8:9], v[102:103]
	;; [unrolled: 1-line block ×16, first 2 shown]
	ds_store_b128 v32, v[20:23]
	ds_store_b128 v32, v[68:71] offset:272
	scratch_store_b32 off, v32, off offset:128 ; 4-byte Folded Spill
	ds_store_b128 v32, v[74:77] offset:544
	ds_store_b128 v254, v[24:27]
	ds_store_b128 v254, v[78:81] offset:272
	ds_store_b128 v254, v[82:85] offset:544
	ds_store_b128 v249, v[28:31]
	ds_store_b128 v249, v[86:89] offset:272
	;; [unrolled: 3-line block ×3, first 2 shown]
	ds_store_b128 v164, v[98:101] offset:544
	global_wb scope:SCOPE_SE
	s_wait_storecnt_dscnt 0x0
	s_barrier_signal -1
	s_barrier_wait -1
	global_inv scope:SCOPE_SE
	s_clause 0x4
	global_load_b128 v[64:67], v[72:73], off offset:576
	global_load_b128 v[68:71], v[72:73], off offset:608
	;; [unrolled: 1-line block ×5, first 2 shown]
	ds_load_b128 v[74:77], v159 offset:4896
	ds_load_b128 v[78:81], v159 offset:8160
	;; [unrolled: 1-line block ×6, first 2 shown]
	v_lshlrev_b32_e32 v20, 6, v152
	s_wait_loadcnt_dscnt 0x405
	v_mul_f64_e32 v[98:99], v[76:77], v[66:67]
	v_mul_f64_e32 v[100:101], v[74:75], v[66:67]
	s_wait_loadcnt_dscnt 0x304
	v_mul_f64_e32 v[102:103], v[78:79], v[70:71]
	v_mul_f64_e32 v[104:105], v[80:81], v[70:71]
	s_wait_dscnt 0x3
	v_mul_f64_e32 v[106:107], v[84:85], v[66:67]
	v_mul_f64_e32 v[108:109], v[82:83], v[66:67]
	s_wait_dscnt 0x2
	v_mul_f64_e32 v[110:111], v[86:87], v[70:71]
	v_mul_f64_e32 v[112:113], v[88:89], v[70:71]
	s_wait_loadcnt_dscnt 0x201
	v_mul_f64_e32 v[114:115], v[92:93], v[162:163]
	v_mul_f64_e32 v[116:117], v[90:91], v[162:163]
	s_wait_dscnt 0x0
	v_mul_f64_e32 v[118:119], v[96:97], v[162:163]
	v_mul_f64_e32 v[120:121], v[94:95], v[162:163]
	v_fma_f64 v[98:99], v[74:75], v[64:65], -v[98:99]
	v_fma_f64 v[100:101], v[76:77], v[64:65], v[100:101]
	v_fma_f64 v[102:103], v[80:81], v[68:69], v[102:103]
	v_fma_f64 v[104:105], v[78:79], v[68:69], -v[104:105]
	v_fma_f64 v[106:107], v[82:83], v[64:65], -v[106:107]
	v_fma_f64 v[108:109], v[84:85], v[64:65], v[108:109]
	v_fma_f64 v[110:111], v[88:89], v[68:69], v[110:111]
	v_fma_f64 v[112:113], v[86:87], v[68:69], -v[112:113]
	ds_load_b128 v[74:77], v159 offset:3264
	ds_load_b128 v[78:81], v159 offset:6528
	;; [unrolled: 1-line block ×4, first 2 shown]
	v_fma_f64 v[90:91], v[90:91], v[160:161], -v[114:115]
	v_fma_f64 v[92:93], v[92:93], v[160:161], v[116:117]
	v_fma_f64 v[94:95], v[94:95], v[160:161], -v[118:119]
	v_fma_f64 v[96:97], v[96:97], v[160:161], v[120:121]
	s_wait_loadcnt_dscnt 0x103
	v_mul_f64_e32 v[122:123], v[76:77], v[30:31]
	v_mul_f64_e32 v[124:125], v[74:75], v[30:31]
	s_wait_loadcnt_dscnt 0x2
	v_mul_f64_e32 v[126:127], v[80:81], v[26:27]
	v_mul_f64_e32 v[128:129], v[78:79], v[26:27]
	s_wait_dscnt 0x1
	v_mul_f64_e32 v[130:131], v[84:85], v[30:31]
	v_mul_f64_e32 v[132:133], v[82:83], v[30:31]
	s_wait_dscnt 0x0
	v_mul_f64_e32 v[134:135], v[88:89], v[26:27]
	v_mul_f64_e32 v[136:137], v[86:87], v[26:27]
	v_add_f64_e32 v[114:115], v[100:101], v[102:103]
	v_add_f64_e32 v[116:117], v[98:99], v[104:105]
	;; [unrolled: 1-line block ×4, first 2 shown]
	v_fma_f64 v[122:123], v[74:75], v[28:29], -v[122:123]
	v_fma_f64 v[124:125], v[76:77], v[28:29], v[124:125]
	v_fma_f64 v[126:127], v[78:79], v[24:25], -v[126:127]
	v_fma_f64 v[128:129], v[80:81], v[24:25], v[128:129]
	v_add_f64_e64 v[74:75], v[100:101], -v[102:103]
	v_add_f64_e64 v[76:77], v[98:99], -v[104:105]
	v_fma_f64 v[82:83], v[82:83], v[28:29], -v[130:131]
	v_fma_f64 v[84:85], v[84:85], v[28:29], v[132:133]
	v_fma_f64 v[86:87], v[86:87], v[24:25], -v[134:135]
	v_fma_f64 v[88:89], v[88:89], v[24:25], v[136:137]
	v_fma_f64 v[78:79], v[114:115], -0.5, v[92:93]
	v_fma_f64 v[80:81], v[116:117], -0.5, v[90:91]
	v_add_f64_e64 v[114:115], v[108:109], -v[110:111]
	v_add_f64_e64 v[116:117], v[106:107], -v[112:113]
	v_fma_f64 v[118:119], v[118:119], -0.5, v[96:97]
	v_fma_f64 v[120:121], v[120:121], -0.5, v[94:95]
	v_add_f64_e32 v[90:91], v[90:91], v[98:99]
	v_add_f64_e32 v[92:93], v[92:93], v[100:101]
	;; [unrolled: 1-line block ×6, first 2 shown]
	v_add_f64_e64 v[106:107], v[122:123], -v[126:127]
	v_add_f64_e32 v[142:143], v[82:83], v[86:87]
	v_add_f64_e32 v[144:145], v[84:85], v[88:89]
	v_fma_f64 v[134:135], v[76:77], s[2:3], v[78:79]
	v_fma_f64 v[138:139], v[74:75], s[8:9], v[80:81]
	;; [unrolled: 1-line block ×8, first 2 shown]
	ds_load_b128 v[74:77], v159
	ds_load_b128 v[78:81], v159 offset:816
	v_add_f64_e64 v[120:121], v[124:125], -v[128:129]
	v_add_f64_e32 v[90:91], v[90:91], v[104:105]
	v_add_f64_e32 v[92:93], v[92:93], v[102:103]
	;; [unrolled: 1-line block ×4, first 2 shown]
	global_wb scope:SCOPE_SE
	s_wait_dscnt 0x0
	s_barrier_signal -1
	s_barrier_wait -1
	global_inv scope:SCOPE_SE
	v_add_f64_e32 v[118:119], v[74:75], v[122:123]
	v_add_f64_e32 v[124:125], v[76:77], v[124:125]
	;; [unrolled: 1-line block ×3, first 2 shown]
	v_fma_f64 v[74:75], v[130:131], -0.5, v[74:75]
	v_fma_f64 v[76:77], v[132:133], -0.5, v[76:77]
	v_add_f64_e32 v[100:101], v[80:81], v[84:85]
	v_add_f64_e64 v[84:85], v[84:85], -v[88:89]
	v_fma_f64 v[78:79], v[142:143], -0.5, v[78:79]
	v_add_f64_e64 v[82:83], v[82:83], -v[86:87]
	v_fma_f64 v[80:81], v[144:145], -0.5, v[80:81]
	v_mul_f64_e32 v[108:109], s[8:9], v[134:135]
	v_mul_f64_e32 v[130:131], s[2:3], v[138:139]
	v_mul_f64_e32 v[122:123], -0.5, v[136:137]
	v_mul_f64_e32 v[132:133], -0.5, v[140:141]
	v_mul_f64_e32 v[142:143], s[8:9], v[146:147]
	v_mul_f64_e32 v[144:145], -0.5, v[148:149]
	v_mul_f64_e32 v[150:151], s[2:3], v[114:115]
	v_mul_f64_e32 v[153:154], -0.5, v[116:117]
	v_add_f64_e32 v[118:119], v[118:119], v[126:127]
	v_add_f64_e32 v[124:125], v[124:125], v[128:129]
	;; [unrolled: 1-line block ×3, first 2 shown]
	v_fma_f64 v[98:99], v[120:121], s[8:9], v[74:75]
	v_fma_f64 v[104:105], v[106:107], s[2:3], v[76:77]
	v_add_f64_e32 v[88:89], v[100:101], v[88:89]
	v_fma_f64 v[100:101], v[120:121], s[2:3], v[74:75]
	v_fma_f64 v[106:107], v[106:107], s[8:9], v[76:77]
	;; [unrolled: 1-line block ×4, first 2 shown]
	v_fma_f64 v[102:103], v[138:139], 0.5, v[108:109]
	v_fma_f64 v[110:111], v[134:135], 0.5, v[130:131]
	v_fma_f64 v[108:109], v[140:141], s[8:9], v[122:123]
	v_fma_f64 v[112:113], v[136:137], s[2:3], v[132:133]
	v_fma_f64 v[114:115], v[114:115], 0.5, v[142:143]
	v_fma_f64 v[122:123], v[84:85], s[2:3], v[78:79]
	v_fma_f64 v[130:131], v[146:147], 0.5, v[150:151]
	v_fma_f64 v[128:129], v[82:83], s[8:9], v[80:81]
	v_fma_f64 v[116:117], v[116:117], s[8:9], v[144:145]
	;; [unrolled: 1-line block ×3, first 2 shown]
	v_add_f64_e32 v[74:75], v[118:119], v[90:91]
	v_add_f64_e32 v[76:77], v[124:125], v[92:93]
	v_add_f64_e64 v[78:79], v[118:119], -v[90:91]
	v_add_f64_e64 v[80:81], v[124:125], -v[92:93]
	v_add_f64_e32 v[82:83], v[86:87], v[94:95]
	v_add_f64_e32 v[84:85], v[88:89], v[96:97]
	v_add_f64_e64 v[86:87], v[86:87], -v[94:95]
	v_add_f64_e64 v[88:89], v[88:89], -v[96:97]
	v_add_f64_e32 v[90:91], v[98:99], v[102:103]
	v_add_f64_e32 v[92:93], v[104:105], v[110:111]
	;; [unrolled: 1-line block ×4, first 2 shown]
	v_add_f64_e64 v[98:99], v[98:99], -v[102:103]
	v_add_f64_e64 v[102:103], v[100:101], -v[108:109]
	v_add_f64_e64 v[100:101], v[104:105], -v[110:111]
	v_add_f64_e64 v[104:105], v[106:107], -v[112:113]
	v_add_f64_e32 v[106:107], v[120:121], v[114:115]
	v_add_f64_e32 v[108:109], v[126:127], v[130:131]
	;; [unrolled: 1-line block ×4, first 2 shown]
	v_add_f64_e64 v[114:115], v[120:121], -v[114:115]
	v_add_f64_e64 v[118:119], v[122:123], -v[116:117]
	;; [unrolled: 1-line block ×4, first 2 shown]
	v_sub_co_u32 v122, s0, v72, v20
	s_wait_alu 0xf1ff
	v_subrev_co_ci_u32_e64 v123, s0, 0, v73, s0
	ds_store_b128 v159, v[74:77]
	ds_store_b128 v159, v[90:93] offset:816
	ds_store_b128 v159, v[94:97] offset:1632
	ds_store_b128 v159, v[78:81] offset:2448
	ds_store_b128 v159, v[98:101] offset:3264
	ds_store_b128 v159, v[102:105] offset:4080
	ds_store_b128 v159, v[82:85] offset:4896
	ds_store_b128 v159, v[106:109] offset:5712
	ds_store_b128 v159, v[110:113] offset:6528
	ds_store_b128 v159, v[86:89] offset:7344
	ds_store_b128 v159, v[114:117] offset:8160
	ds_store_b128 v159, v[118:121] offset:8976
	global_wb scope:SCOPE_SE
	s_wait_dscnt 0x0
	s_barrier_signal -1
	s_barrier_wait -1
	global_inv scope:SCOPE_SE
	s_clause 0x5
	global_load_b128 v[20:23], v[122:123], off offset:4624
	global_load_b128 v[32:35], v[122:123], off offset:5440
	global_load_b128 v[36:39], v[122:123], off offset:6256
	global_load_b128 v[40:43], v[122:123], off offset:7072
	global_load_b128 v[44:47], v[122:123], off offset:7888
	global_load_b128 v[48:51], v[122:123], off offset:8704
	ds_load_b128 v[96:99], v159 offset:4896
	ds_load_b128 v[100:103], v159 offset:5712
	;; [unrolled: 1-line block ×6, first 2 shown]
	s_wait_loadcnt_dscnt 0x505
	v_mul_f64_e32 v[120:121], v[98:99], v[22:23]
	v_mul_f64_e32 v[122:123], v[96:97], v[22:23]
	s_wait_loadcnt_dscnt 0x404
	v_mul_f64_e32 v[124:125], v[102:103], v[34:35]
	v_mul_f64_e32 v[126:127], v[100:101], v[34:35]
	;; [unrolled: 3-line block ×6, first 2 shown]
	s_clause 0x5
	scratch_store_b128 off, v[20:23], off offset:32
	scratch_store_b128 off, v[32:35], off offset:48
	;; [unrolled: 1-line block ×6, first 2 shown]
	v_fma_f64 v[120:121], v[96:97], v[20:21], -v[120:121]
	v_fma_f64 v[122:123], v[98:99], v[20:21], v[122:123]
	v_fma_f64 v[148:149], v[100:101], v[32:33], -v[124:125]
	v_fma_f64 v[150:151], v[102:103], v[32:33], v[126:127]
	;; [unrolled: 2-line block ×6, first 2 shown]
	ds_load_b128 v[96:99], v159
	ds_load_b128 v[108:111], v159 offset:816
	ds_load_b128 v[112:115], v159 offset:1632
	;; [unrolled: 1-line block ×5, first 2 shown]
	scratch_store_b32 off, v152, off offset:8 ; 4-byte Folded Spill
	v_lshlrev_b32_e32 v152, 4, v152
	s_wait_dscnt 0x5
	v_add_f64_e64 v[100:101], v[96:97], -v[120:121]
	v_add_f64_e64 v[102:103], v[98:99], -v[122:123]
	s_wait_dscnt 0x4
	v_add_f64_e64 v[104:105], v[108:109], -v[148:149]
	v_add_f64_e64 v[106:107], v[110:111], -v[150:151]
	;; [unrolled: 3-line block ×6, first 2 shown]
	v_fma_f64 v[96:97], v[96:97], 2.0, -v[100:101]
	v_fma_f64 v[98:99], v[98:99], 2.0, -v[102:103]
	;; [unrolled: 1-line block ×12, first 2 shown]
	ds_store_b128 v159, v[100:103] offset:4896
	ds_store_b128 v159, v[104:107] offset:5712
	;; [unrolled: 1-line block ×6, first 2 shown]
	ds_store_b128 v159, v[96:99]
	ds_store_b128 v159, v[108:111] offset:816
	ds_store_b128 v159, v[112:115] offset:1632
	;; [unrolled: 1-line block ×5, first 2 shown]
	global_wb scope:SCOPE_SE
	s_wait_storecnt_dscnt 0x0
	s_barrier_signal -1
	s_barrier_wait -1
	global_inv scope:SCOPE_SE
	s_and_saveexec_b32 s2, vcc_lo
	s_cbranch_execz .LBB0_9
; %bb.8:
	global_load_b128 v[153:156], v255, s[12:13] offset:9792
	s_add_nc_u64 s[0:1], s[12:13], 0x2640
	s_clause 0x4
	global_load_b128 v[144:147], v255, s[0:1] offset:576
	global_load_b128 v[148:151], v255, s[0:1] offset:1152
	;; [unrolled: 1-line block ×5, first 2 shown]
	ds_load_b128 v[177:180], v159
	s_wait_loadcnt_dscnt 0x500
	v_mul_f64_e32 v[157:158], v[179:180], v[155:156]
	v_mul_f64_e32 v[181:182], v[177:178], v[155:156]
	s_delay_alu instid0(VALU_DEP_2) | instskip(NEXT) | instid1(VALU_DEP_2)
	v_fma_f64 v[155:156], v[177:178], v[153:154], -v[157:158]
	v_fma_f64 v[157:158], v[179:180], v[153:154], v[181:182]
	ds_store_b128 v159, v[155:158]
	ds_load_b128 v[153:156], v152 offset:576
	ds_load_b128 v[177:180], v152 offset:1152
	s_wait_loadcnt_dscnt 0x401
	v_mul_f64_e32 v[157:158], v[155:156], v[146:147]
	v_mul_f64_e32 v[146:147], v[153:154], v[146:147]
	s_wait_loadcnt_dscnt 0x300
	v_mul_f64_e32 v[185:186], v[179:180], v[150:151]
	v_mul_f64_e32 v[150:151], v[177:178], v[150:151]
	s_delay_alu instid0(VALU_DEP_4) | instskip(NEXT) | instid1(VALU_DEP_4)
	v_fma_f64 v[153:154], v[153:154], v[144:145], -v[157:158]
	v_fma_f64 v[155:156], v[155:156], v[144:145], v[146:147]
	ds_load_b128 v[144:147], v152 offset:1728
	ds_load_b128 v[181:184], v152 offset:2304
	v_fma_f64 v[177:178], v[177:178], v[148:149], -v[185:186]
	v_fma_f64 v[179:180], v[179:180], v[148:149], v[150:151]
	s_wait_loadcnt_dscnt 0x201
	v_mul_f64_e32 v[157:158], v[146:147], v[167:168]
	v_mul_f64_e32 v[148:149], v[144:145], v[167:168]
	s_wait_loadcnt_dscnt 0x100
	v_mul_f64_e32 v[185:186], v[183:184], v[171:172]
	v_mul_f64_e32 v[171:172], v[181:182], v[171:172]
	s_delay_alu instid0(VALU_DEP_4) | instskip(NEXT) | instid1(VALU_DEP_4)
	v_fma_f64 v[144:145], v[144:145], v[165:166], -v[157:158]
	v_fma_f64 v[146:147], v[146:147], v[165:166], v[148:149]
	ds_load_b128 v[165:168], v152 offset:2880
	global_load_b128 v[148:151], v255, s[0:1] offset:3456
	v_fma_f64 v[181:182], v[181:182], v[169:170], -v[185:186]
	v_fma_f64 v[183:184], v[183:184], v[169:170], v[171:172]
	ds_load_b128 v[169:172], v152 offset:3456
	s_wait_loadcnt_dscnt 0x101
	v_mul_f64_e32 v[157:158], v[167:168], v[175:176]
	v_mul_f64_e32 v[175:176], v[165:166], v[175:176]
	s_delay_alu instid0(VALU_DEP_2) | instskip(NEXT) | instid1(VALU_DEP_2)
	v_fma_f64 v[165:166], v[165:166], v[173:174], -v[157:158]
	v_fma_f64 v[167:168], v[167:168], v[173:174], v[175:176]
	global_load_b128 v[173:176], v255, s[0:1] offset:4032
	s_wait_loadcnt_dscnt 0x100
	v_mul_f64_e32 v[157:158], v[171:172], v[150:151]
	v_mul_f64_e32 v[150:151], v[169:170], v[150:151]
	s_delay_alu instid0(VALU_DEP_2) | instskip(NEXT) | instid1(VALU_DEP_2)
	v_fma_f64 v[169:170], v[169:170], v[148:149], -v[157:158]
	v_fma_f64 v[171:172], v[171:172], v[148:149], v[150:151]
	ds_load_b128 v[148:151], v152 offset:4032
	ds_load_b128 v[185:188], v152 offset:4608
	s_wait_loadcnt_dscnt 0x1
	v_mul_f64_e32 v[157:158], v[150:151], v[175:176]
	v_mul_f64_e32 v[175:176], v[148:149], v[175:176]
	s_delay_alu instid0(VALU_DEP_2) | instskip(NEXT) | instid1(VALU_DEP_2)
	v_fma_f64 v[148:149], v[148:149], v[173:174], -v[157:158]
	v_fma_f64 v[150:151], v[150:151], v[173:174], v[175:176]
	s_clause 0x1
	global_load_b128 v[173:176], v255, s[0:1] offset:4608
	global_load_b128 v[189:192], v255, s[0:1] offset:5184
	s_wait_loadcnt_dscnt 0x100
	v_mul_f64_e32 v[157:158], v[187:188], v[175:176]
	v_mul_f64_e32 v[175:176], v[185:186], v[175:176]
	s_delay_alu instid0(VALU_DEP_2) | instskip(NEXT) | instid1(VALU_DEP_2)
	v_fma_f64 v[185:186], v[185:186], v[173:174], -v[157:158]
	v_fma_f64 v[187:188], v[187:188], v[173:174], v[175:176]
	ds_load_b128 v[173:176], v152 offset:5184
	ds_load_b128 v[193:196], v152 offset:5760
	s_wait_loadcnt_dscnt 0x1
	v_mul_f64_e32 v[157:158], v[175:176], v[191:192]
	v_mul_f64_e32 v[191:192], v[173:174], v[191:192]
	s_delay_alu instid0(VALU_DEP_2) | instskip(NEXT) | instid1(VALU_DEP_2)
	v_fma_f64 v[173:174], v[173:174], v[189:190], -v[157:158]
	v_fma_f64 v[175:176], v[175:176], v[189:190], v[191:192]
	s_clause 0x1
	global_load_b128 v[189:192], v255, s[0:1] offset:5760
	global_load_b128 v[197:200], v255, s[0:1] offset:6336
	s_wait_loadcnt_dscnt 0x100
	v_mul_f64_e32 v[157:158], v[195:196], v[191:192]
	v_mul_f64_e32 v[201:202], v[193:194], v[191:192]
	s_delay_alu instid0(VALU_DEP_2) | instskip(NEXT) | instid1(VALU_DEP_2)
	v_fma_f64 v[191:192], v[193:194], v[189:190], -v[157:158]
	v_fma_f64 v[193:194], v[195:196], v[189:190], v[201:202]
	ds_load_b128 v[201:204], v152 offset:6336
	ds_load_b128 v[205:208], v152 offset:6912
	s_wait_loadcnt_dscnt 0x1
	v_mul_f64_e32 v[157:158], v[203:204], v[199:200]
	v_mul_f64_e32 v[189:190], v[201:202], v[199:200]
	s_delay_alu instid0(VALU_DEP_2)
	v_fma_f64 v[195:196], v[201:202], v[197:198], -v[157:158]
	s_clause 0x1
	global_load_b128 v[199:202], v255, s[0:1] offset:6912
	global_load_b128 v[209:212], v255, s[0:1] offset:7488
	v_fma_f64 v[197:198], v[203:204], v[197:198], v[189:190]
	s_wait_loadcnt_dscnt 0x100
	v_mul_f64_e32 v[157:158], v[207:208], v[201:202]
	v_mul_f64_e32 v[189:190], v[205:206], v[201:202]
	s_delay_alu instid0(VALU_DEP_2) | instskip(NEXT) | instid1(VALU_DEP_2)
	v_fma_f64 v[201:202], v[205:206], v[199:200], -v[157:158]
	v_fma_f64 v[203:204], v[207:208], v[199:200], v[189:190]
	ds_load_b128 v[205:208], v152 offset:7488
	ds_load_b128 v[213:216], v152 offset:8064
	s_wait_loadcnt_dscnt 0x1
	v_mul_f64_e32 v[157:158], v[207:208], v[211:212]
	v_mul_f64_e32 v[189:190], v[205:206], v[211:212]
	s_delay_alu instid0(VALU_DEP_2) | instskip(NEXT) | instid1(VALU_DEP_2)
	v_fma_f64 v[205:206], v[205:206], v[209:210], -v[157:158]
	v_fma_f64 v[207:208], v[207:208], v[209:210], v[189:190]
	s_clause 0x1
	global_load_b128 v[209:212], v255, s[0:1] offset:8064
	global_load_b128 v[217:220], v255, s[0:1] offset:8640
	ds_load_b128 v[221:224], v152 offset:8640
	ds_load_b128 v[225:228], v152 offset:9216
	s_wait_loadcnt_dscnt 0x102
	v_mul_f64_e32 v[157:158], v[215:216], v[211:212]
	v_mul_f64_e32 v[189:190], v[213:214], v[211:212]
	s_delay_alu instid0(VALU_DEP_2) | instskip(SKIP_2) | instid1(VALU_DEP_3)
	v_fma_f64 v[211:212], v[213:214], v[209:210], -v[157:158]
	s_wait_loadcnt_dscnt 0x1
	v_mul_f64_e32 v[157:158], v[223:224], v[219:220]
	v_fma_f64 v[213:214], v[215:216], v[209:210], v[189:190]
	v_mul_f64_e32 v[189:190], v[221:222], v[219:220]
	s_delay_alu instid0(VALU_DEP_3)
	v_fma_f64 v[215:216], v[221:222], v[217:218], -v[157:158]
	global_load_b128 v[219:222], v255, s[0:1] offset:9216
	v_fma_f64 v[217:218], v[223:224], v[217:218], v[189:190]
	s_wait_loadcnt_dscnt 0x0
	v_mul_f64_e32 v[157:158], v[227:228], v[221:222]
	v_mul_f64_e32 v[189:190], v[225:226], v[221:222]
	s_delay_alu instid0(VALU_DEP_2) | instskip(NEXT) | instid1(VALU_DEP_2)
	v_fma_f64 v[221:222], v[225:226], v[219:220], -v[157:158]
	v_fma_f64 v[223:224], v[227:228], v[219:220], v[189:190]
	ds_store_b128 v152, v[153:156] offset:576
	ds_store_b128 v152, v[177:180] offset:1152
	;; [unrolled: 1-line block ×16, first 2 shown]
.LBB0_9:
	s_wait_alu 0xfffe
	s_or_b32 exec_lo, exec_lo, s2
	global_wb scope:SCOPE_SE
	s_wait_dscnt 0x0
	s_barrier_signal -1
	s_barrier_wait -1
	global_inv scope:SCOPE_SE
	s_and_saveexec_b32 s0, vcc_lo
	s_cbranch_execz .LBB0_11
; %bb.10:
	ds_load_b128 v[96:99], v159
	ds_load_b128 v[100:103], v159 offset:576
	ds_load_b128 v[108:111], v159 offset:1152
	;; [unrolled: 1-line block ×16, first 2 shown]
.LBB0_11:
	s_wait_alu 0xfffe
	s_or_b32 exec_lo, exec_lo, s0
	global_wb scope:SCOPE_SE
	s_wait_dscnt 0x0
	s_barrier_signal -1
	s_barrier_wait -1
	global_inv scope:SCOPE_SE
	s_and_saveexec_b32 s33, vcc_lo
	s_cbranch_execz .LBB0_13
; %bb.12:
	v_add_f64_e32 v[144:145], v[98:99], v[102:103]
	v_add_f64_e32 v[146:147], v[96:97], v[100:101]
	v_add_f64_e64 v[155:156], v[110:111], -v[6:7]
	s_mov_b32 s24, 0x6c9a05f6
	s_mov_b32 s25, 0xbfe9895b
	v_add_f64_e64 v[157:158], v[108:109], -v[4:5]
	s_mov_b32 s46, 0x923c349f
	s_mov_b32 s8, 0x6ed5f1bb
	;; [unrolled: 1-line block ×9, first 2 shown]
	s_wait_alu 0xfffe
	s_mov_b32 s42, s26
	s_mov_b32 s16, 0x3259b75e
	;; [unrolled: 1-line block ×6, first 2 shown]
	s_wait_alu 0xfffe
	s_mov_b32 s36, s44
	s_mov_b32 s34, 0x2a9d6da3
	;; [unrolled: 1-line block ×5, first 2 shown]
	s_wait_alu 0xfffe
	s_mov_b32 s48, s34
	s_mov_b32 s19, 0x3fdc86fa
	;; [unrolled: 1-line block ×11, first 2 shown]
	s_wait_alu 0xfffe
	s_mov_b32 s28, s40
	v_add_f64_e32 v[144:145], v[144:145], v[110:111]
	v_add_f64_e32 v[146:147], v[146:147], v[108:109]
	;; [unrolled: 1-line block ×3, first 2 shown]
	s_mov_b32 s2, 0x910ea3b9
	s_mov_b32 s0, 0x7faef3
	;; [unrolled: 1-line block ×6, first 2 shown]
	v_dual_mov_b32 v215, v229 :: v_dual_mov_b32 v216, v230
	v_dual_mov_b32 v217, v231 :: v_dual_mov_b32 v218, v232
	s_mov_b32 s51, 0x3fe9895b
	s_mov_b32 s50, s24
	;; [unrolled: 1-line block ×4, first 2 shown]
	v_mul_f64_e32 v[76:77], s[24:25], v[155:156]
	s_wait_alu 0xfffe
	v_mul_f64_e32 v[22:23], s[52:53], v[155:156]
	v_add_f64_e32 v[144:145], v[144:145], v[106:107]
	v_add_f64_e32 v[146:147], v[146:147], v[104:105]
	s_delay_alu instid0(VALU_DEP_4) | instskip(NEXT) | instid1(VALU_DEP_3)
	v_fma_f64 v[78:79], v[108:109], s[8:9], v[76:77]
	v_add_f64_e32 v[144:145], v[144:145], v[114:115]
	s_delay_alu instid0(VALU_DEP_3) | instskip(NEXT) | instid1(VALU_DEP_2)
	v_add_f64_e32 v[146:147], v[146:147], v[112:113]
	v_add_f64_e32 v[144:145], v[144:145], v[118:119]
	s_delay_alu instid0(VALU_DEP_2) | instskip(NEXT) | instid1(VALU_DEP_2)
	v_add_f64_e32 v[146:147], v[146:147], v[116:117]
	v_add_f64_e32 v[144:145], v[144:145], v[126:127]
	s_delay_alu instid0(VALU_DEP_2) | instskip(NEXT) | instid1(VALU_DEP_2)
	;; [unrolled: 3-line block ×3, first 2 shown]
	v_add_f64_e32 v[146:147], v[146:147], v[128:129]
	v_add_f64_e32 v[148:149], v[144:145], v[142:143]
	s_delay_alu instid0(VALU_DEP_2)
	v_add_f64_e32 v[150:151], v[146:147], v[140:141]
	v_add_f64_e64 v[146:147], v[140:141], -v[136:137]
	v_add_f64_e32 v[140:141], v[140:141], v[136:137]
	v_add_f64_e32 v[144:145], v[142:143], v[138:139]
	v_add_f64_e64 v[142:143], v[142:143], -v[138:139]
	v_add_f64_e32 v[153:154], v[148:149], v[138:139]
	v_add_f64_e32 v[150:151], v[150:151], v[136:137]
	;; [unrolled: 1-line block ×3, first 2 shown]
	v_add_f64_e64 v[148:149], v[130:131], -v[134:135]
	v_add_f64_e64 v[138:139], v[128:129], -v[132:133]
	v_add_f64_e32 v[128:129], v[128:129], v[132:133]
	v_add_f64_e32 v[130:131], v[126:127], v[122:123]
	v_add_f64_e64 v[126:127], v[126:127], -v[122:123]
	v_add_f64_e32 v[134:135], v[153:154], v[134:135]
	v_add_f64_e32 v[150:151], v[150:151], v[132:133]
	v_add_f64_e64 v[132:133], v[124:125], -v[120:121]
	v_add_f64_e32 v[124:125], v[124:125], v[120:121]
	v_mul_f64_e32 v[219:220], s[38:39], v[148:149]
	v_mul_f64_e32 v[72:73], s[44:45], v[148:149]
	;; [unrolled: 1-line block ×5, first 2 shown]
	v_add_f64_e32 v[134:135], v[134:135], v[122:123]
	v_add_f64_e32 v[150:151], v[150:151], v[120:121]
	v_add_f64_e32 v[120:121], v[118:119], v[18:19]
	v_add_f64_e64 v[118:119], v[118:119], -v[18:19]
	v_add_f64_e64 v[122:123], v[116:117], -v[16:17]
	v_add_f64_e32 v[116:117], v[116:117], v[16:17]
	v_fma_f64 v[34:35], v[128:129], s[2:3], v[219:220]
	v_fma_f64 v[74:75], v[128:129], s[18:19], v[72:73]
	v_add_f64_e32 v[153:154], v[134:135], v[18:19]
	v_add_f64_e32 v[150:151], v[150:151], v[16:17]
	;; [unrolled: 1-line block ×3, first 2 shown]
	v_add_f64_e64 v[114:115], v[114:115], -v[14:15]
	v_add_f64_e64 v[134:135], v[112:113], -v[12:13]
	v_add_f64_e32 v[16:17], v[112:113], v[12:13]
	v_add_f64_e32 v[112:113], v[106:107], v[10:11]
	v_mul_f64_e32 v[92:93], s[34:35], v[118:119]
	v_add_f64_e32 v[14:15], v[153:154], v[14:15]
	v_add_f64_e32 v[12:13], v[150:151], v[12:13]
	v_add_f64_e64 v[153:154], v[106:107], -v[10:11]
	v_add_f64_e64 v[150:151], v[104:105], -v[8:9]
	v_add_f64_e32 v[104:105], v[104:105], v[8:9]
	v_add_f64_e32 v[106:107], v[110:111], v[6:7]
	v_mul_f64_e32 v[52:53], s[30:31], v[114:115]
	v_mul_f64_e32 v[88:89], s[52:53], v[114:115]
	v_fma_f64 v[94:95], v[116:117], s[20:21], v[92:93]
	v_mul_f64_e32 v[20:21], s[40:41], v[134:135]
	v_add_f64_e32 v[10:11], v[14:15], v[10:11]
	v_add_f64_e32 v[8:9], v[12:13], v[8:9]
	;; [unrolled: 1-line block ×4, first 2 shown]
	v_mul_f64_e32 v[40:41], s[28:29], v[150:151]
	v_mul_f64_e32 v[48:49], s[24:25], v[153:154]
	;; [unrolled: 1-line block ×3, first 2 shown]
	v_fma_f64 v[54:55], v[16:17], s[0:1], v[52:53]
	v_fma_f64 v[90:91], v[16:17], s[10:11], v[88:89]
	v_add_f64_e32 v[6:7], v[10:11], v[6:7]
	v_add_f64_e64 v[10:11], v[102:103], -v[2:3]
	v_add_f64_e32 v[4:5], v[8:9], v[4:5]
	v_add_f64_e64 v[8:9], v[100:101], -v[0:1]
	v_fma_f64 v[50:51], v[104:105], s[8:9], v[48:49]
	v_fma_f64 v[46:47], v[112:113], s[8:9], -v[44:45]
	v_add_f64_e32 v[2:3], v[6:7], v[2:3]
	v_mul_f64_e32 v[187:188], s[24:25], v[10:11]
	v_add_f64_e32 v[0:1], v[4:5], v[0:1]
	v_mul_f64_e32 v[102:103], s[46:47], v[8:9]
	v_mul_f64_e32 v[189:190], s[46:47], v[10:11]
	v_mul_f64_e32 v[110:111], s[42:43], v[8:9]
	v_mul_f64_e32 v[191:192], s[42:43], v[10:11]
	v_mul_f64_e32 v[165:166], s[36:37], v[8:9]
	v_mul_f64_e32 v[167:168], s[48:49], v[8:9]
	v_mul_f64_e32 v[195:196], s[48:49], v[10:11]
	v_mul_f64_e32 v[4:5], s[30:31], v[8:9]
	v_mul_f64_e32 v[6:7], s[38:39], v[8:9]
	v_mul_f64_e32 v[100:101], s[24:25], v[8:9]
	v_mul_f64_e32 v[8:9], s[28:29], v[8:9]
	v_mul_f64_e32 v[185:186], s[38:39], v[10:11]
	v_mul_f64_e32 v[193:194], s[36:37], v[10:11]
	v_fma_f64 v[201:202], v[14:15], s[8:9], -v[187:188]
	v_fma_f64 v[187:188], v[14:15], s[8:9], v[187:188]
	scratch_store_b128 off, v[0:3], off offset:140 ; 16-byte Folded Spill
	v_fma_f64 v[175:176], v[12:13], s[10:11], v[102:103]
	v_fma_f64 v[203:204], v[14:15], s[10:11], -v[189:190]
	v_fma_f64 v[177:178], v[12:13], s[16:17], v[110:111]
	v_fma_f64 v[205:206], v[14:15], s[16:17], -v[191:192]
	v_fma_f64 v[179:180], v[12:13], s[18:19], -v[165:166]
	v_fma_f64 v[165:166], v[12:13], s[18:19], v[165:166]
	v_fma_f64 v[181:182], v[12:13], s[20:21], -v[167:168]
	v_fma_f64 v[167:168], v[12:13], s[20:21], v[167:168]
	v_fma_f64 v[209:210], v[14:15], s[20:21], v[195:196]
	v_fma_f64 v[195:196], v[14:15], s[20:21], -v[195:196]
	v_fma_f64 v[169:170], v[12:13], s[0:1], v[4:5]
	v_fma_f64 v[4:5], v[12:13], s[0:1], -v[4:5]
	;; [unrolled: 2-line block ×4, first 2 shown]
	v_fma_f64 v[102:103], v[12:13], s[10:11], -v[102:103]
	v_fma_f64 v[110:111], v[12:13], s[16:17], -v[110:111]
	;; [unrolled: 1-line block ×3, first 2 shown]
	v_fma_f64 v[8:9], v[12:13], s[22:23], v[8:9]
	v_mul_f64_e32 v[12:13], s[30:31], v[10:11]
	v_mul_f64_e32 v[10:11], s[28:29], v[10:11]
	v_fma_f64 v[199:200], v[14:15], s[2:3], -v[185:186]
	v_fma_f64 v[185:186], v[14:15], s[2:3], v[185:186]
	v_fma_f64 v[189:190], v[14:15], s[10:11], v[189:190]
	;; [unrolled: 1-line block ×4, first 2 shown]
	v_fma_f64 v[193:194], v[14:15], s[18:19], -v[193:194]
	v_add_f64_e32 v[201:202], v[96:97], v[201:202]
	v_add_f64_e32 v[0:1], v[96:97], v[187:188]
	;; [unrolled: 1-line block ×8, first 2 shown]
	v_fma_f64 v[197:198], v[14:15], s[0:1], -v[12:13]
	v_fma_f64 v[12:13], v[14:15], s[0:1], v[12:13]
	v_fma_f64 v[211:212], v[14:15], s[22:23], v[10:11]
	v_fma_f64 v[10:11], v[14:15], s[22:23], -v[10:11]
	v_add_f64_e32 v[14:15], v[98:99], v[169:170]
	v_add_f64_e32 v[187:188], v[96:97], v[191:192]
	;; [unrolled: 1-line block ×7, first 2 shown]
	scratch_store_b64 off, v[0:1], off offset:308 ; 8-byte Folded Spill
	v_add_f64_e32 v[0:1], v[98:99], v[175:176]
	v_add_f64_e32 v[175:176], v[98:99], v[183:184]
	;; [unrolled: 1-line block ×3, first 2 shown]
	v_mul_f64_e32 v[207:208], s[38:39], v[132:133]
	v_add_f64_e32 v[169:170], v[96:97], v[197:198]
	v_add_f64_e32 v[197:198], v[98:99], v[4:5]
	;; [unrolled: 1-line block ×4, first 2 shown]
	scratch_store_b64 off, v[0:1], off offset:284 ; 8-byte Folded Spill
	v_add_f64_e32 v[0:1], v[96:97], v[203:204]
	v_add_f64_e32 v[78:79], v[78:79], v[183:184]
	scratch_store_b64 off, v[0:1], off offset:276 ; 8-byte Folded Spill
	v_add_f64_e32 v[0:1], v[98:99], v[177:178]
	v_add_f64_e32 v[177:178], v[98:99], v[181:182]
	;; [unrolled: 1-line block ×3, first 2 shown]
	scratch_store_b64 off, v[0:1], off offset:252 ; 8-byte Folded Spill
	v_add_f64_e32 v[0:1], v[96:97], v[205:206]
	v_dual_mov_b32 v203, v233 :: v_dual_mov_b32 v204, v234
	v_dual_mov_b32 v205, v235 :: v_dual_mov_b32 v206, v236
	v_mul_f64_e32 v[233:234], s[26:27], v[146:147]
	v_mul_f64_e32 v[235:236], s[26:27], v[142:143]
	scratch_store_b64 off, v[0:1], off offset:244 ; 8-byte Folded Spill
	v_add_f64_e32 v[0:1], v[98:99], v[165:166]
	scratch_store_b64 off, v[0:1], off offset:236 ; 8-byte Folded Spill
	v_add_f64_e32 v[0:1], v[98:99], v[167:168]
	;; [unrolled: 2-line block ×4, first 2 shown]
	v_mul_f64_e32 v[8:9], s[40:41], v[157:158]
	v_fma_f64 v[98:99], v[18:19], s[22:23], -v[20:21]
	scratch_store_b64 off, v[0:1], off offset:196 ; 8-byte Folded Spill
	v_fma_f64 v[4:5], v[106:107], s[22:23], v[8:9]
	v_add_f64_e32 v[0:1], v[96:97], v[10:11]
	v_mul_f64_e32 v[10:11], s[40:41], v[155:156]
	v_fma_f64 v[8:9], v[106:107], s[22:23], -v[8:9]
	v_mul_f64_e32 v[96:97], s[30:31], v[146:147]
	v_add_f64_e32 v[4:5], v[4:5], v[14:15]
	v_mul_f64_e32 v[14:15], s[38:39], v[150:151]
	v_fma_f64 v[6:7], v[108:109], s[22:23], -v[10:11]
	v_fma_f64 v[10:11], v[108:109], s[22:23], v[10:11]
	v_add_f64_e32 v[8:9], v[8:9], v[197:198]
	scratch_store_b64 off, v[0:1], off offset:188 ; 8-byte Folded Spill
	v_fma_f64 v[38:39], v[144:145], s[0:1], -v[96:97]
	v_fma_f64 v[165:166], v[112:113], s[2:3], v[14:15]
	v_add_f64_e32 v[6:7], v[6:7], v[169:170]
	v_add_f64_e32 v[10:11], v[10:11], v[12:13]
	v_fma_f64 v[12:13], v[112:113], s[2:3], -v[14:15]
	v_fma_f64 v[14:15], v[140:141], s[16:17], v[235:236]
	v_add_f64_e32 v[4:5], v[165:166], v[4:5]
	v_mul_f64_e32 v[165:166], s[38:39], v[153:154]
	s_delay_alu instid0(VALU_DEP_4) | instskip(NEXT) | instid1(VALU_DEP_2)
	v_add_f64_e32 v[8:9], v[12:13], v[8:9]
	v_fma_f64 v[167:168], v[104:105], s[2:3], -v[165:166]
	v_fma_f64 v[12:13], v[104:105], s[2:3], v[165:166]
	v_mul_f64_e32 v[165:166], s[44:45], v[157:158]
	s_delay_alu instid0(VALU_DEP_3) | instskip(SKIP_1) | instid1(VALU_DEP_4)
	v_add_f64_e32 v[6:7], v[167:168], v[6:7]
	v_mul_f64_e32 v[167:168], s[34:35], v[134:135]
	v_add_f64_e32 v[10:11], v[12:13], v[10:11]
	s_delay_alu instid0(VALU_DEP_2) | instskip(SKIP_2) | instid1(VALU_DEP_3)
	v_fma_f64 v[169:170], v[18:19], s[20:21], v[167:168]
	v_fma_f64 v[12:13], v[18:19], s[20:21], -v[167:168]
	v_mul_f64_e32 v[167:168], s[44:45], v[155:156]
	v_add_f64_e32 v[4:5], v[169:170], v[4:5]
	v_mul_f64_e32 v[169:170], s[34:35], v[114:115]
	s_delay_alu instid0(VALU_DEP_4) | instskip(NEXT) | instid1(VALU_DEP_2)
	v_add_f64_e32 v[8:9], v[12:13], v[8:9]
	v_fma_f64 v[195:196], v[16:17], s[20:21], -v[169:170]
	v_fma_f64 v[12:13], v[16:17], s[20:21], v[169:170]
	v_mul_f64_e32 v[169:170], s[42:43], v[150:151]
	s_delay_alu instid0(VALU_DEP_3) | instskip(SKIP_1) | instid1(VALU_DEP_4)
	v_add_f64_e32 v[6:7], v[195:196], v[6:7]
	v_mul_f64_e32 v[195:196], s[24:25], v[122:123]
	v_add_f64_e32 v[10:11], v[12:13], v[10:11]
	s_delay_alu instid0(VALU_DEP_2) | instskip(SKIP_1) | instid1(VALU_DEP_2)
	v_fma_f64 v[209:210], v[120:121], s[8:9], v[195:196]
	v_fma_f64 v[12:13], v[120:121], s[8:9], -v[195:196]
	v_add_f64_e32 v[4:5], v[209:210], v[4:5]
	v_mul_f64_e32 v[209:210], s[24:25], v[118:119]
	s_delay_alu instid0(VALU_DEP_3) | instskip(NEXT) | instid1(VALU_DEP_2)
	v_add_f64_e32 v[8:9], v[12:13], v[8:9]
	v_fma_f64 v[211:212], v[116:117], s[8:9], -v[209:210]
	v_fma_f64 v[12:13], v[116:117], s[8:9], v[209:210]
	s_delay_alu instid0(VALU_DEP_2) | instskip(SKIP_1) | instid1(VALU_DEP_3)
	v_add_f64_e32 v[6:7], v[211:212], v[6:7]
	v_mul_f64_e32 v[211:212], s[44:45], v[132:133]
	v_add_f64_e32 v[10:11], v[12:13], v[10:11]
	s_delay_alu instid0(VALU_DEP_2) | instskip(SKIP_1) | instid1(VALU_DEP_2)
	v_fma_f64 v[225:226], v[130:131], s[18:19], v[211:212]
	v_fma_f64 v[12:13], v[130:131], s[18:19], -v[211:212]
	v_add_f64_e32 v[4:5], v[225:226], v[4:5]
	v_mul_f64_e32 v[225:226], s[44:45], v[126:127]
	s_delay_alu instid0(VALU_DEP_3) | instskip(NEXT) | instid1(VALU_DEP_2)
	v_add_f64_e32 v[8:9], v[12:13], v[8:9]
	v_fma_f64 v[227:228], v[124:125], s[18:19], -v[225:226]
	v_fma_f64 v[12:13], v[124:125], s[18:19], v[225:226]
	s_delay_alu instid0(VALU_DEP_2) | instskip(SKIP_1) | instid1(VALU_DEP_3)
	;; [unrolled: 13-line block ×3, first 2 shown]
	v_add_f64_e32 v[231:232], v[231:232], v[6:7]
	v_fma_f64 v[6:7], v[144:145], s[16:17], v[233:234]
	v_add_f64_e32 v[12:13], v[12:13], v[10:11]
	v_fma_f64 v[10:11], v[144:145], s[16:17], -v[233:234]
	v_mul_f64_e32 v[233:234], s[46:47], v[146:147]
	s_delay_alu instid0(VALU_DEP_4) | instskip(SKIP_3) | instid1(VALU_DEP_3)
	v_add_f64_e32 v[2:3], v[6:7], v[4:5]
	v_fma_f64 v[4:5], v[140:141], s[16:17], -v[235:236]
	v_mul_f64_e32 v[235:236], s[46:47], v[142:143]
	v_fma_f64 v[6:7], v[136:137], s[16:17], -v[36:37]
	v_add_f64_e32 v[0:1], v[4:5], v[231:232]
	v_mul_f64_e32 v[4:5], s[34:35], v[146:147]
	scratch_store_b128 off, v[0:3], off offset:156 ; 16-byte Folded Spill
	v_add_f64_e32 v[0:1], v[14:15], v[12:13]
	v_fma_f64 v[12:13], v[106:107], s[18:19], v[165:166]
	v_fma_f64 v[14:15], v[108:109], s[18:19], -v[167:168]
	v_fma_f64 v[165:166], v[106:107], s[18:19], -v[165:166]
	v_fma_f64 v[167:168], v[108:109], s[18:19], v[167:168]
	v_add_f64_e32 v[2:3], v[10:11], v[8:9]
	v_mul_f64_e32 v[8:9], s[28:29], v[126:127]
	v_add_f64_e32 v[12:13], v[12:13], v[171:172]
	v_fma_f64 v[171:172], v[112:113], s[16:17], v[169:170]
	v_add_f64_e32 v[14:15], v[14:15], v[199:200]
	v_add_f64_e32 v[165:166], v[165:166], v[213:214]
	v_fma_f64 v[169:170], v[112:113], s[16:17], -v[169:170]
	v_add_f64_e32 v[167:168], v[167:168], v[185:186]
	scratch_store_b128 off, v[0:3], off offset:172 ; 16-byte Folded Spill
	v_mul_f64_e32 v[213:214], s[26:27], v[122:123]
	v_add_f64_e32 v[12:13], v[171:172], v[12:13]
	v_mul_f64_e32 v[171:172], s[42:43], v[153:154]
	v_add_f64_e32 v[165:166], v[169:170], v[165:166]
	s_delay_alu instid0(VALU_DEP_2) | instskip(SKIP_2) | instid1(VALU_DEP_3)
	v_fma_f64 v[195:196], v[104:105], s[16:17], -v[171:172]
	v_fma_f64 v[169:170], v[104:105], s[16:17], v[171:172]
	v_fma_f64 v[171:172], v[140:141], s[10:11], v[235:236]
	v_add_f64_e32 v[14:15], v[195:196], v[14:15]
	v_mul_f64_e32 v[195:196], s[50:51], v[134:135]
	s_delay_alu instid0(VALU_DEP_4) | instskip(NEXT) | instid1(VALU_DEP_2)
	v_add_f64_e32 v[167:168], v[169:170], v[167:168]
	v_fma_f64 v[197:198], v[18:19], s[8:9], v[195:196]
	v_fma_f64 v[169:170], v[18:19], s[8:9], -v[195:196]
	v_mul_f64_e32 v[195:196], s[52:53], v[157:158]
	s_delay_alu instid0(VALU_DEP_3) | instskip(SKIP_1) | instid1(VALU_DEP_4)
	v_add_f64_e32 v[12:13], v[197:198], v[12:13]
	v_mul_f64_e32 v[197:198], s[50:51], v[114:115]
	v_add_f64_e32 v[165:166], v[169:170], v[165:166]
	s_delay_alu instid0(VALU_DEP_2) | instskip(SKIP_1) | instid1(VALU_DEP_2)
	v_fma_f64 v[199:200], v[16:17], s[8:9], -v[197:198]
	v_fma_f64 v[169:170], v[16:17], s[8:9], v[197:198]
	v_add_f64_e32 v[14:15], v[199:200], v[14:15]
	v_mul_f64_e32 v[199:200], s[28:29], v[122:123]
	s_delay_alu instid0(VALU_DEP_3) | instskip(NEXT) | instid1(VALU_DEP_2)
	v_add_f64_e32 v[167:168], v[169:170], v[167:168]
	v_fma_f64 v[209:210], v[120:121], s[22:23], v[199:200]
	v_fma_f64 v[169:170], v[120:121], s[22:23], -v[199:200]
	v_dual_mov_b32 v197, v250 :: v_dual_mov_b32 v200, v253
	v_dual_mov_b32 v198, v251 :: v_dual_mov_b32 v199, v252
	;; [unrolled: 1-line block ×3, first 2 shown]
	v_mov_b32_e32 v255, v249
	v_mul_f64_e32 v[249:250], s[24:25], v[146:147]
	v_add_f64_e32 v[12:13], v[209:210], v[12:13]
	v_mul_f64_e32 v[209:210], s[28:29], v[118:119]
	v_add_f64_e32 v[165:166], v[169:170], v[165:166]
	s_delay_alu instid0(VALU_DEP_2) | instskip(SKIP_2) | instid1(VALU_DEP_3)
	v_fma_f64 v[211:212], v[116:117], s[22:23], -v[209:210]
	v_fma_f64 v[169:170], v[116:117], s[22:23], v[209:210]
	v_mul_f64_e32 v[209:210], s[38:39], v[134:135]
	v_add_f64_e32 v[14:15], v[211:212], v[14:15]
	v_mul_f64_e32 v[211:212], s[30:31], v[132:133]
	s_delay_alu instid0(VALU_DEP_4) | instskip(NEXT) | instid1(VALU_DEP_2)
	v_add_f64_e32 v[167:168], v[169:170], v[167:168]
	v_fma_f64 v[225:226], v[130:131], s[0:1], v[211:212]
	v_fma_f64 v[169:170], v[130:131], s[0:1], -v[211:212]
	v_mul_f64_e32 v[211:212], s[38:39], v[114:115]
	s_delay_alu instid0(VALU_DEP_3) | instskip(SKIP_1) | instid1(VALU_DEP_4)
	v_add_f64_e32 v[12:13], v[225:226], v[12:13]
	v_mul_f64_e32 v[225:226], s[30:31], v[126:127]
	v_add_f64_e32 v[165:166], v[169:170], v[165:166]
	s_delay_alu instid0(VALU_DEP_2) | instskip(SKIP_2) | instid1(VALU_DEP_3)
	v_fma_f64 v[227:228], v[124:125], s[0:1], -v[225:226]
	v_fma_f64 v[169:170], v[124:125], s[0:1], v[225:226]
	v_mul_f64_e32 v[225:226], s[26:27], v[118:119]
	v_add_f64_e32 v[14:15], v[227:228], v[14:15]
	v_mul_f64_e32 v[227:228], s[34:35], v[138:139]
	s_delay_alu instid0(VALU_DEP_4) | instskip(NEXT) | instid1(VALU_DEP_2)
	v_add_f64_e32 v[167:168], v[169:170], v[167:168]
	v_fma_f64 v[229:230], v[136:137], s[20:21], v[227:228]
	v_fma_f64 v[169:170], v[136:137], s[20:21], -v[227:228]
	v_mul_f64_e32 v[227:228], s[48:49], v[132:133]
	s_delay_alu instid0(VALU_DEP_3) | instskip(SKIP_1) | instid1(VALU_DEP_4)
	v_add_f64_e32 v[12:13], v[229:230], v[12:13]
	v_mul_f64_e32 v[229:230], s[34:35], v[148:149]
	v_add_f64_e32 v[165:166], v[169:170], v[165:166]
	s_delay_alu instid0(VALU_DEP_2) | instskip(SKIP_2) | instid1(VALU_DEP_3)
	v_fma_f64 v[231:232], v[128:129], s[20:21], -v[229:230]
	v_fma_f64 v[169:170], v[128:129], s[20:21], v[229:230]
	v_mul_f64_e32 v[229:230], s[48:49], v[126:127]
	v_add_f64_e32 v[231:232], v[231:232], v[14:15]
	v_fma_f64 v[14:15], v[144:145], s[10:11], v[233:234]
	s_delay_alu instid0(VALU_DEP_4) | instskip(SKIP_2) | instid1(VALU_DEP_4)
	v_add_f64_e32 v[169:170], v[169:170], v[167:168]
	v_fma_f64 v[167:168], v[144:145], s[10:11], -v[233:234]
	v_mul_f64_e32 v[233:234], s[30:31], v[148:149]
	v_add_f64_e32 v[2:3], v[14:15], v[12:13]
	v_fma_f64 v[12:13], v[140:141], s[10:11], -v[235:236]
	v_mul_f64_e32 v[235:236], s[44:45], v[146:147]
	s_delay_alu instid0(VALU_DEP_2)
	v_add_f64_e32 v[0:1], v[12:13], v[231:232]
	v_mul_f64_e32 v[231:232], s[30:31], v[138:139]
	v_mul_f64_e32 v[12:13], s[38:39], v[146:147]
	scratch_store_b128 off, v[0:3], off offset:220 ; 16-byte Folded Spill
	v_add_f64_e32 v[0:1], v[171:172], v[169:170]
	v_fma_f64 v[169:170], v[106:107], s[10:11], v[195:196]
	v_fma_f64 v[171:172], v[108:109], s[10:11], -v[22:23]
	v_add_f64_e32 v[2:3], v[167:168], v[165:166]
	v_fma_f64 v[10:11], v[144:145], s[2:3], -v[12:13]
	s_delay_alu instid0(VALU_DEP_4) | instskip(NEXT) | instid1(VALU_DEP_4)
	v_add_f64_e32 v[169:170], v[169:170], v[173:174]
	v_add_f64_e32 v[171:172], v[171:172], v[201:202]
	v_fma_f64 v[173:174], v[112:113], s[22:23], v[40:41]
	v_mul_f64_e32 v[201:202], s[28:29], v[153:154]
	scratch_store_b128 off, v[0:3], off offset:260 ; 16-byte Folded Spill
	v_add_f64_e32 v[169:170], v[173:174], v[169:170]
	v_fma_f64 v[173:174], v[104:105], s[22:23], -v[201:202]
	s_delay_alu instid0(VALU_DEP_1) | instskip(SKIP_1) | instid1(VALU_DEP_1)
	v_add_f64_e32 v[171:172], v[173:174], v[171:172]
	v_fma_f64 v[173:174], v[18:19], s[2:3], v[209:210]
	v_add_f64_e32 v[169:170], v[173:174], v[169:170]
	v_fma_f64 v[173:174], v[16:17], s[2:3], -v[211:212]
	s_delay_alu instid0(VALU_DEP_1) | instskip(SKIP_1) | instid1(VALU_DEP_1)
	v_add_f64_e32 v[171:172], v[173:174], v[171:172]
	v_fma_f64 v[173:174], v[120:121], s[16:17], v[213:214]
	;; [unrolled: 5-line block ×5, first 2 shown]
	v_add_f64_e32 v[2:3], v[171:172], v[169:170]
	v_mov_b32_e32 v172, v164
	v_dual_mov_b32 v164, v237 :: v_dual_mov_b32 v167, v240
	v_dual_mov_b32 v165, v238 :: v_dual_mov_b32 v166, v239
	v_mul_f64_e32 v[237:238], s[44:45], v[142:143]
	v_mul_f64_e32 v[239:240], s[36:37], v[122:123]
	s_delay_alu instid0(VALU_DEP_2) | instskip(NEXT) | instid1(VALU_DEP_1)
	v_fma_f64 v[169:170], v[140:141], s[18:19], -v[237:238]
	v_add_f64_e32 v[0:1], v[169:170], v[173:174]
	v_dual_mov_b32 v168, v241 :: v_dual_mov_b32 v171, v244
	v_dual_mov_b32 v170, v243 :: v_dual_mov_b32 v169, v242
	v_mul_f64_e32 v[241:242], s[36:37], v[118:119]
	v_mul_f64_e32 v[243:244], s[38:39], v[126:127]
	scratch_store_b128 off, v[0:3], off offset:292 ; 16-byte Folded Spill
	v_mul_f64_e32 v[0:1], s[48:49], v[157:158]
	v_mul_f64_e32 v[2:3], s[50:51], v[138:139]
	scratch_store_b64 off, v[0:1], off offset:316 ; 8-byte Folded Spill
	v_fma_f64 v[173:174], v[106:107], s[20:21], -v[0:1]
	v_mul_f64_e32 v[0:1], s[48:49], v[155:156]
	s_delay_alu instid0(VALU_DEP_2) | instskip(SKIP_3) | instid1(VALU_DEP_2)
	v_add_f64_e32 v[173:174], v[173:174], v[175:176]
	scratch_store_b64 off, v[0:1], off offset:324 ; 8-byte Folded Spill
	v_fma_f64 v[175:176], v[108:109], s[20:21], v[0:1]
	v_mul_f64_e32 v[0:1], s[36:37], v[150:151]
	v_add_f64_e32 v[175:176], v[175:176], v[179:180]
	scratch_store_b64 off, v[0:1], off offset:332 ; 8-byte Folded Spill
	v_fma_f64 v[179:180], v[112:113], s[18:19], -v[0:1]
	v_mul_f64_e32 v[0:1], s[36:37], v[153:154]
	s_delay_alu instid0(VALU_DEP_2) | instskip(SKIP_3) | instid1(VALU_DEP_2)
	v_add_f64_e32 v[173:174], v[179:180], v[173:174]
	scratch_store_b64 off, v[0:1], off offset:340 ; 8-byte Folded Spill
	v_fma_f64 v[179:180], v[104:105], s[18:19], v[0:1]
	v_mul_f64_e32 v[0:1], s[42:43], v[134:135]
	v_add_f64_e32 v[175:176], v[179:180], v[175:176]
	;; [unrolled: 9-line block ×3, first 2 shown]
	scratch_store_b64 off, v[0:1], off offset:364 ; 8-byte Folded Spill
	v_fma_f64 v[179:180], v[120:121], s[10:11], -v[0:1]
	v_mul_f64_e32 v[0:1], s[46:47], v[118:119]
	s_mov_b32 s47, 0x3fe0d888
	s_mov_b32 s46, s38
	s_wait_alu 0xfffe
	v_mul_f64_e32 v[56:57], s[46:47], v[118:119]
	v_mul_f64_e32 v[118:119], s[30:31], v[118:119]
	s_delay_alu instid0(VALU_DEP_4) | instskip(SKIP_4) | instid1(VALU_DEP_3)
	v_add_f64_e32 v[173:174], v[179:180], v[173:174]
	scratch_store_b64 off, v[0:1], off offset:372 ; 8-byte Folded Spill
	v_fma_f64 v[179:180], v[116:117], s[10:11], v[0:1]
	v_mul_f64_e32 v[0:1], s[24:25], v[132:133]
	v_fma_f64 v[58:59], v[116:117], s[2:3], v[56:57]
	v_add_f64_e32 v[175:176], v[179:180], v[175:176]
	scratch_store_b64 off, v[0:1], off offset:380 ; 8-byte Folded Spill
	v_fma_f64 v[179:180], v[130:131], s[8:9], -v[0:1]
	v_mul_f64_e32 v[0:1], s[24:25], v[126:127]
	s_delay_alu instid0(VALU_DEP_2) | instskip(SKIP_3) | instid1(VALU_DEP_2)
	v_add_f64_e32 v[173:174], v[179:180], v[173:174]
	scratch_store_b64 off, v[0:1], off offset:388 ; 8-byte Folded Spill
	v_fma_f64 v[179:180], v[124:125], s[8:9], v[0:1]
	v_mul_f64_e32 v[0:1], s[38:39], v[138:139]
	v_add_f64_e32 v[175:176], v[179:180], v[175:176]
	s_delay_alu instid0(VALU_DEP_2)
	v_fma_f64 v[179:180], v[136:137], s[2:3], -v[0:1]
	scratch_store_b64 off, v[0:1], off offset:396 ; 8-byte Folded Spill
	v_mul_f64_e32 v[0:1], s[30:31], v[142:143]
	v_add_f64_e32 v[34:35], v[34:35], v[175:176]
	v_add_f64_e32 v[173:174], v[179:180], v[173:174]
	scratch_store_b64 off, v[0:1], off offset:404 ; 8-byte Folded Spill
	v_add_f64_e32 v[175:176], v[38:39], v[173:174]
	v_mul_f64_e32 v[38:39], s[42:43], v[155:156]
	v_fma_f64 v[173:174], v[140:141], s[0:1], v[0:1]
	v_mul_f64_e32 v[0:1], s[42:43], v[157:158]
	s_delay_alu instid0(VALU_DEP_3) | instskip(NEXT) | instid1(VALU_DEP_3)
	v_fma_f64 v[42:43], v[108:109], s[16:17], v[38:39]
	v_add_f64_e32 v[173:174], v[173:174], v[34:35]
	s_delay_alu instid0(VALU_DEP_3)
	v_fma_f64 v[179:180], v[106:107], s[16:17], -v[0:1]
	v_dual_mov_b32 v32, v60 :: v_dual_mov_b32 v35, v63
	v_dual_mov_b32 v33, v61 :: v_dual_mov_b32 v34, v62
	v_mul_f64_e32 v[60:61], s[52:53], v[126:127]
	scratch_store_b64 off, v[0:1], off offset:412 ; 8-byte Folded Spill
	v_mul_f64_e32 v[0:1], s[52:53], v[153:154]
	v_mul_f64_e32 v[126:127], s[26:27], v[126:127]
	v_add_f64_e32 v[42:43], v[42:43], v[181:182]
	v_add_f64_e32 v[177:178], v[179:180], v[177:178]
	v_fma_f64 v[62:63], v[124:125], s[10:11], v[60:61]
	v_fma_f64 v[14:15], v[104:105], s[10:11], v[0:1]
	v_fma_f64 v[0:1], v[104:105], s[10:11], -v[0:1]
	v_add_f64_e32 v[42:43], v[50:51], v[42:43]
	v_mul_f64_e32 v[50:51], s[30:31], v[134:135]
	v_add_f64_e32 v[46:47], v[46:47], v[177:178]
	s_delay_alu instid0(VALU_DEP_3) | instskip(NEXT) | instid1(VALU_DEP_3)
	v_add_f64_e32 v[42:43], v[54:55], v[42:43]
	v_fma_f64 v[177:178], v[18:19], s[0:1], -v[50:51]
	v_mul_f64_e32 v[54:55], s[46:47], v[122:123]
	s_delay_alu instid0(VALU_DEP_3) | instskip(NEXT) | instid1(VALU_DEP_3)
	v_add_f64_e32 v[42:43], v[58:59], v[42:43]
	v_add_f64_e32 v[46:47], v[177:178], v[46:47]
	s_delay_alu instid0(VALU_DEP_3) | instskip(SKIP_1) | instid1(VALU_DEP_4)
	v_fma_f64 v[177:178], v[120:121], s[2:3], -v[54:55]
	v_mul_f64_e32 v[58:59], s[52:53], v[132:133]
	v_add_f64_e32 v[42:43], v[62:63], v[42:43]
	v_mul_f64_e32 v[62:63], s[44:45], v[138:139]
	s_delay_alu instid0(VALU_DEP_4) | instskip(NEXT) | instid1(VALU_DEP_4)
	v_add_f64_e32 v[46:47], v[177:178], v[46:47]
	v_fma_f64 v[177:178], v[130:131], s[10:11], -v[58:59]
	s_mov_b32 s45, 0x3fc7851a
	s_mov_b32 s44, s30
	v_mul_f64_e32 v[138:139], s[28:29], v[138:139]
	s_wait_alu 0xfffe
	v_mul_f64_e32 v[84:85], s[44:45], v[153:154]
	v_mul_f64_e32 v[80:81], s[44:45], v[150:151]
	;; [unrolled: 1-line block ×3, first 2 shown]
	v_add_f64_e32 v[42:43], v[74:75], v[42:43]
	v_mul_f64_e32 v[74:75], s[40:41], v[146:147]
	v_fma_f64 v[146:147], v[112:113], s[22:23], -v[40:41]
	v_add_f64_e32 v[46:47], v[177:178], v[46:47]
	v_fma_f64 v[177:178], v[136:137], s[18:19], -v[62:63]
	v_fma_f64 v[86:87], v[104:105], s[0:1], v[84:85]
	v_fma_f64 v[82:83], v[112:113], s[0:1], -v[80:81]
	s_delay_alu instid0(VALU_DEP_3) | instskip(SKIP_1) | instid1(VALU_DEP_4)
	v_add_f64_e32 v[46:47], v[177:178], v[46:47]
	v_fma_f64 v[177:178], v[144:145], s[22:23], -v[74:75]
	v_add_f64_e32 v[78:79], v[86:87], v[78:79]
	v_mul_f64_e32 v[86:87], s[52:53], v[134:135]
	s_delay_alu instid0(VALU_DEP_3) | instskip(SKIP_1) | instid1(VALU_DEP_4)
	v_add_f64_e32 v[179:180], v[177:178], v[46:47]
	v_mul_f64_e32 v[46:47], s[40:41], v[142:143]
	v_add_f64_e32 v[78:79], v[90:91], v[78:79]
	v_mul_f64_e32 v[90:91], s[34:35], v[122:123]
	v_mul_f64_e32 v[122:123], s[30:31], v[122:123]
	s_delay_alu instid0(VALU_DEP_4) | instskip(NEXT) | instid1(VALU_DEP_4)
	v_fma_f64 v[177:178], v[140:141], s[22:23], v[46:47]
	v_add_f64_e32 v[78:79], v[94:95], v[78:79]
	v_mul_f64_e32 v[94:95], s[28:29], v[132:133]
	s_delay_alu instid0(VALU_DEP_3) | instskip(SKIP_1) | instid1(VALU_DEP_1)
	v_add_f64_e32 v[177:178], v[177:178], v[42:43]
	v_mul_f64_e32 v[42:43], s[24:25], v[157:158]
	v_fma_f64 v[181:182], v[106:107], s[8:9], -v[42:43]
	s_delay_alu instid0(VALU_DEP_1) | instskip(SKIP_2) | instid1(VALU_DEP_3)
	v_add_f64_e32 v[181:182], v[181:182], v[191:192]
	v_mul_f64_e32 v[191:192], s[52:53], v[150:151]
	v_mul_f64_e32 v[150:151], s[34:35], v[150:151]
	v_add_f64_e32 v[82:83], v[82:83], v[181:182]
	v_fma_f64 v[181:182], v[18:19], s[10:11], -v[86:87]
	s_delay_alu instid0(VALU_DEP_1) | instskip(SKIP_1) | instid1(VALU_DEP_1)
	v_add_f64_e32 v[82:83], v[181:182], v[82:83]
	v_fma_f64 v[181:182], v[120:121], s[20:21], -v[90:91]
	v_add_f64_e32 v[82:83], v[181:182], v[82:83]
	v_fma_f64 v[181:182], v[130:131], s[22:23], -v[94:95]
	s_delay_alu instid0(VALU_DEP_1) | instskip(SKIP_2) | instid1(VALU_DEP_3)
	v_add_f64_e32 v[82:83], v[181:182], v[82:83]
	v_fma_f64 v[181:182], v[124:125], s[22:23], v[8:9]
	v_fma_f64 v[8:9], v[124:125], s[22:23], -v[8:9]
	v_add_f64_e32 v[6:7], v[6:7], v[82:83]
	v_mul_f64_e32 v[82:83], s[42:43], v[148:149]
	s_delay_alu instid0(VALU_DEP_4) | instskip(NEXT) | instid1(VALU_DEP_3)
	v_add_f64_e32 v[78:79], v[181:182], v[78:79]
	v_add_f64_e32 v[183:184], v[10:11], v[6:7]
	s_delay_alu instid0(VALU_DEP_3) | instskip(SKIP_1) | instid1(VALU_DEP_2)
	v_fma_f64 v[181:182], v[128:129], s[16:17], v[82:83]
	v_mul_f64_e32 v[6:7], s[38:39], v[142:143]
	v_add_f64_e32 v[78:79], v[181:182], v[78:79]
	s_delay_alu instid0(VALU_DEP_2) | instskip(SKIP_1) | instid1(VALU_DEP_2)
	v_fma_f64 v[10:11], v[140:141], s[2:3], v[6:7]
	v_fma_f64 v[6:7], v[140:141], s[2:3], -v[6:7]
	v_add_f64_e32 v[181:182], v[10:11], v[78:79]
	v_mul_f64_e32 v[10:11], s[30:31], v[157:158]
	s_delay_alu instid0(VALU_DEP_1) | instskip(SKIP_1) | instid1(VALU_DEP_2)
	v_fma_f64 v[78:79], v[106:107], s[0:1], -v[10:11]
	v_fma_f64 v[10:11], v[106:107], s[0:1], v[10:11]
	v_add_f64_e32 v[78:79], v[78:79], v[110:111]
	v_mul_f64_e32 v[110:111], s[30:31], v[155:156]
	v_mul_f64_e32 v[155:156], s[46:47], v[155:156]
	s_delay_alu instid0(VALU_DEP_2) | instskip(NEXT) | instid1(VALU_DEP_1)
	v_fma_f64 v[185:186], v[108:109], s[0:1], v[110:111]
	v_add_f64_e32 v[185:186], v[185:186], v[187:188]
	v_fma_f64 v[187:188], v[112:113], s[10:11], -v[191:192]
	s_delay_alu instid0(VALU_DEP_2) | instskip(NEXT) | instid1(VALU_DEP_2)
	v_add_f64_e32 v[14:15], v[14:15], v[185:186]
	v_add_f64_e32 v[78:79], v[187:188], v[78:79]
	s_delay_alu instid0(VALU_DEP_1) | instskip(SKIP_2) | instid1(VALU_DEP_2)
	v_add_f64_e32 v[78:79], v[98:99], v[78:79]
	v_mul_f64_e32 v[98:99], s[40:41], v[114:115]
	v_mul_f64_e32 v[114:115], s[36:37], v[114:115]
	v_fma_f64 v[185:186], v[16:17], s[22:23], v[98:99]
	s_delay_alu instid0(VALU_DEP_1) | instskip(SKIP_1) | instid1(VALU_DEP_1)
	v_add_f64_e32 v[14:15], v[185:186], v[14:15]
	v_fma_f64 v[185:186], v[120:121], s[18:19], -v[239:240]
	v_add_f64_e32 v[78:79], v[185:186], v[78:79]
	v_fma_f64 v[185:186], v[116:117], s[18:19], v[241:242]
	s_delay_alu instid0(VALU_DEP_1) | instskip(SKIP_1) | instid1(VALU_DEP_1)
	v_add_f64_e32 v[14:15], v[185:186], v[14:15]
	v_fma_f64 v[185:186], v[130:131], s[2:3], -v[207:208]
	v_add_f64_e32 v[78:79], v[185:186], v[78:79]
	;; [unrolled: 5-line block ×4, first 2 shown]
	v_mul_f64_e32 v[78:79], s[34:35], v[142:143]
	v_mul_f64_e32 v[142:143], s[24:25], v[142:143]
	s_delay_alu instid0(VALU_DEP_2) | instskip(NEXT) | instid1(VALU_DEP_1)
	v_fma_f64 v[185:186], v[140:141], s[20:21], v[78:79]
	v_add_f64_e32 v[185:186], v[185:186], v[14:15]
	v_mul_f64_e32 v[14:15], s[46:47], v[157:158]
	s_delay_alu instid0(VALU_DEP_1) | instskip(SKIP_1) | instid1(VALU_DEP_2)
	v_fma_f64 v[157:158], v[106:107], s[2:3], -v[14:15]
	v_fma_f64 v[14:15], v[106:107], s[2:3], v[14:15]
	v_add_f64_e32 v[102:103], v[157:158], v[102:103]
	v_fma_f64 v[157:158], v[108:109], s[2:3], v[155:156]
	s_delay_alu instid0(VALU_DEP_1) | instskip(SKIP_1) | instid1(VALU_DEP_1)
	v_add_f64_e32 v[157:158], v[157:158], v[189:190]
	v_fma_f64 v[189:190], v[112:113], s[20:21], -v[150:151]
	v_add_f64_e32 v[102:103], v[189:190], v[102:103]
	v_fma_f64 v[189:190], v[104:105], s[20:21], v[153:154]
	s_delay_alu instid0(VALU_DEP_1) | instskip(SKIP_1) | instid1(VALU_DEP_1)
	v_add_f64_e32 v[157:158], v[189:190], v[157:158]
	v_mul_f64_e32 v[189:190], s[36:37], v[134:135]
	v_fma_f64 v[134:135], v[18:19], s[18:19], -v[189:190]
	s_delay_alu instid0(VALU_DEP_1) | instskip(SKIP_1) | instid1(VALU_DEP_1)
	v_add_f64_e32 v[102:103], v[134:135], v[102:103]
	v_fma_f64 v[134:135], v[16:17], s[18:19], v[114:115]
	v_add_f64_e32 v[134:135], v[134:135], v[157:158]
	v_fma_f64 v[157:158], v[120:121], s[0:1], -v[122:123]
	s_delay_alu instid0(VALU_DEP_1) | instskip(SKIP_1) | instid1(VALU_DEP_1)
	v_add_f64_e32 v[102:103], v[157:158], v[102:103]
	v_fma_f64 v[157:158], v[116:117], s[0:1], v[118:119]
	v_add_f64_e32 v[134:135], v[157:158], v[134:135]
	v_mul_f64_e32 v[157:158], s[26:27], v[132:133]
	s_delay_alu instid0(VALU_DEP_1) | instskip(NEXT) | instid1(VALU_DEP_1)
	v_fma_f64 v[132:133], v[130:131], s[16:17], -v[157:158]
	v_add_f64_e32 v[102:103], v[132:133], v[102:103]
	v_fma_f64 v[132:133], v[124:125], s[16:17], v[126:127]
	s_delay_alu instid0(VALU_DEP_1) | instskip(SKIP_1) | instid1(VALU_DEP_1)
	v_add_f64_e32 v[132:133], v[132:133], v[134:135]
	v_fma_f64 v[134:135], v[136:137], s[22:23], -v[138:139]
	v_add_f64_e32 v[102:103], v[134:135], v[102:103]
	v_fma_f64 v[134:135], v[128:129], s[22:23], v[221:222]
	s_delay_alu instid0(VALU_DEP_1) | instskip(SKIP_1) | instid1(VALU_DEP_1)
	v_add_f64_e32 v[132:133], v[134:135], v[132:133]
	v_fma_f64 v[134:135], v[144:145], s[8:9], -v[249:250]
	v_add_f64_e32 v[134:135], v[134:135], v[102:103]
	v_fma_f64 v[102:103], v[140:141], s[8:9], v[142:143]
	s_delay_alu instid0(VALU_DEP_1) | instskip(SKIP_2) | instid1(VALU_DEP_2)
	v_add_f64_e32 v[132:133], v[102:103], v[132:133]
	v_fma_f64 v[102:103], v[106:107], s[10:11], -v[195:196]
	v_fma_f64 v[195:196], v[140:141], s[18:19], v[237:238]
	v_add_f64_e32 v[100:101], v[102:103], v[100:101]
	v_fma_f64 v[102:103], v[108:109], s[10:11], v[22:23]
	scratch_load_b64 v[22:23], off, off offset:308 th:TH_LOAD_LU ; 8-byte Folded Reload
	v_add_f64_e32 v[100:101], v[146:147], v[100:101]
	v_fma_f64 v[146:147], v[104:105], s[22:23], v[201:202]
	s_wait_loadcnt 0x0
	v_add_f64_e32 v[102:103], v[102:103], v[22:23]
	scratch_load_b64 v[22:23], off, off offset:284 th:TH_LOAD_LU ; 8-byte Folded Reload
	v_add_f64_e32 v[102:103], v[146:147], v[102:103]
	v_fma_f64 v[146:147], v[18:19], s[2:3], -v[209:210]
	s_delay_alu instid0(VALU_DEP_1) | instskip(SKIP_1) | instid1(VALU_DEP_1)
	v_add_f64_e32 v[100:101], v[146:147], v[100:101]
	v_fma_f64 v[146:147], v[16:17], s[2:3], v[211:212]
	v_add_f64_e32 v[102:103], v[146:147], v[102:103]
	v_fma_f64 v[146:147], v[120:121], s[16:17], -v[213:214]
	s_delay_alu instid0(VALU_DEP_1) | instskip(SKIP_1) | instid1(VALU_DEP_1)
	v_add_f64_e32 v[100:101], v[146:147], v[100:101]
	v_fma_f64 v[146:147], v[116:117], s[16:17], v[225:226]
	;; [unrolled: 5-line block ×3, first 2 shown]
	v_add_f64_e32 v[102:103], v[146:147], v[102:103]
	v_fma_f64 v[146:147], v[136:137], s[0:1], -v[231:232]
	v_dual_mov_b32 v232, v218 :: v_dual_mov_b32 v231, v217
	v_dual_mov_b32 v230, v216 :: v_dual_mov_b32 v229, v215
	s_delay_alu instid0(VALU_DEP_3)
	v_add_f64_e32 v[100:101], v[146:147], v[100:101]
	v_fma_f64 v[146:147], v[128:129], s[0:1], v[233:234]
	s_wait_loadcnt 0x0
	v_add_f64_e32 v[14:15], v[14:15], v[22:23]
	scratch_load_b64 v[22:23], off, off offset:276 th:TH_LOAD_LU ; 8-byte Folded Reload
	v_add_f64_e32 v[102:103], v[146:147], v[102:103]
	v_fma_f64 v[146:147], v[144:145], s[18:19], -v[235:236]
	v_dual_mov_b32 v236, v206 :: v_dual_mov_b32 v235, v205
	v_dual_mov_b32 v234, v204 :: v_dual_mov_b32 v233, v203
	s_delay_alu instid0(VALU_DEP_3) | instskip(SKIP_3) | instid1(VALU_DEP_1)
	v_add_f64_e32 v[148:149], v[146:147], v[100:101]
	v_add_f64_e32 v[146:147], v[195:196], v[102:103]
	v_fma_f64 v[100:101], v[108:109], s[2:3], -v[155:156]
	v_fma_f64 v[102:103], v[112:113], s[20:21], v[150:151]
	v_add_f64_e32 v[14:15], v[102:103], v[14:15]
	v_fma_f64 v[102:103], v[104:105], s[20:21], -v[153:154]
	s_wait_loadcnt 0x0
	s_delay_alu instid0(VALU_DEP_4) | instskip(NEXT) | instid1(VALU_DEP_1)
	v_add_f64_e32 v[100:101], v[100:101], v[22:23]
	v_add_f64_e32 v[100:101], v[102:103], v[100:101]
	v_fma_f64 v[102:103], v[18:19], s[18:19], v[189:190]
	s_delay_alu instid0(VALU_DEP_1) | instskip(SKIP_2) | instid1(VALU_DEP_2)
	v_add_f64_e32 v[14:15], v[102:103], v[14:15]
	v_fma_f64 v[102:103], v[16:17], s[18:19], -v[114:115]
	v_fma_f64 v[114:115], v[140:141], s[8:9], -v[142:143]
	v_add_f64_e32 v[100:101], v[102:103], v[100:101]
	v_fma_f64 v[102:103], v[120:121], s[0:1], v[122:123]
	s_delay_alu instid0(VALU_DEP_1) | instskip(SKIP_1) | instid1(VALU_DEP_1)
	v_add_f64_e32 v[14:15], v[102:103], v[14:15]
	v_fma_f64 v[102:103], v[116:117], s[0:1], -v[118:119]
	v_add_f64_e32 v[100:101], v[102:103], v[100:101]
	v_fma_f64 v[102:103], v[130:131], s[16:17], v[157:158]
	s_delay_alu instid0(VALU_DEP_1) | instskip(SKIP_1) | instid1(VALU_DEP_1)
	v_add_f64_e32 v[14:15], v[102:103], v[14:15]
	;; [unrolled: 5-line block ×3, first 2 shown]
	v_fma_f64 v[102:103], v[128:129], s[22:23], -v[221:222]
	v_add_f64_e32 v[100:101], v[102:103], v[100:101]
	v_fma_f64 v[102:103], v[144:145], s[8:9], v[249:250]
	v_mov_b32_e32 v249, v255
	v_dual_mov_b32 v255, v152 :: v_dual_mov_b32 v152, v251
	v_dual_mov_b32 v253, v200 :: v_dual_mov_b32 v250, v197
	;; [unrolled: 1-line block ×3, first 2 shown]
	v_add_f64_e32 v[153:154], v[114:115], v[100:101]
	v_add_f64_e32 v[155:156], v[102:103], v[14:15]
	scratch_load_b64 v[14:15], off, off offset:252 th:TH_LOAD_LU ; 8-byte Folded Reload
	s_wait_loadcnt 0x0
	v_add_f64_e32 v[10:11], v[10:11], v[14:15]
	v_fma_f64 v[14:15], v[112:113], s[10:11], v[191:192]
	s_delay_alu instid0(VALU_DEP_1)
	v_add_f64_e32 v[10:11], v[14:15], v[10:11]
	v_fma_f64 v[14:15], v[18:19], s[22:23], v[20:21]
	scratch_load_b64 v[20:21], off, off offset:244 th:TH_LOAD_LU ; 8-byte Folded Reload
	v_add_f64_e32 v[10:11], v[14:15], v[10:11]
	v_fma_f64 v[14:15], v[120:121], s[18:19], v[239:240]
	v_dual_mov_b32 v240, v167 :: v_dual_mov_b32 v239, v166
	v_dual_mov_b32 v238, v165 :: v_dual_mov_b32 v237, v164
	v_mov_b32_e32 v164, v172
	s_delay_alu instid0(VALU_DEP_4) | instskip(SKIP_1) | instid1(VALU_DEP_1)
	v_add_f64_e32 v[10:11], v[14:15], v[10:11]
	v_fma_f64 v[14:15], v[130:131], s[2:3], v[207:208]
	v_add_f64_e32 v[10:11], v[14:15], v[10:11]
	v_fma_f64 v[14:15], v[108:109], s[0:1], -v[110:111]
	s_wait_loadcnt 0x0
	s_delay_alu instid0(VALU_DEP_1) | instskip(SKIP_1) | instid1(VALU_DEP_2)
	v_add_f64_e32 v[14:15], v[14:15], v[20:21]
	v_fma_f64 v[20:21], v[140:141], s[20:21], -v[78:79]
	v_add_f64_e32 v[0:1], v[0:1], v[14:15]
	v_fma_f64 v[14:15], v[16:17], s[22:23], -v[98:99]
	s_delay_alu instid0(VALU_DEP_1) | instskip(SKIP_1) | instid1(VALU_DEP_1)
	v_add_f64_e32 v[0:1], v[14:15], v[0:1]
	v_fma_f64 v[14:15], v[116:117], s[18:19], -v[241:242]
	v_add_f64_e32 v[0:1], v[14:15], v[0:1]
	v_fma_f64 v[14:15], v[124:125], s[2:3], -v[243:244]
	v_dual_mov_b32 v244, v171 :: v_dual_mov_b32 v243, v170
	v_dual_mov_b32 v242, v169 :: v_dual_mov_b32 v241, v168
	s_delay_alu instid0(VALU_DEP_3) | instskip(SKIP_4) | instid1(VALU_DEP_1)
	v_add_f64_e32 v[0:1], v[14:15], v[0:1]
	v_fma_f64 v[14:15], v[136:137], s[8:9], v[2:3]
	scratch_load_b64 v[2:3], off, off offset:236 th:TH_LOAD_LU ; 8-byte Folded Reload
	v_add_f64_e32 v[10:11], v[14:15], v[10:11]
	v_fma_f64 v[14:15], v[128:129], s[8:9], -v[223:224]
	v_add_f64_e32 v[0:1], v[14:15], v[0:1]
	v_fma_f64 v[14:15], v[144:145], s[20:21], v[4:5]
	v_fma_f64 v[4:5], v[136:137], s[16:17], v[36:37]
	s_delay_alu instid0(VALU_DEP_3) | instskip(SKIP_1) | instid1(VALU_DEP_4)
	v_add_f64_e32 v[189:190], v[20:21], v[0:1]
	v_fma_f64 v[0:1], v[106:107], s[8:9], v[42:43]
	v_add_f64_e32 v[191:192], v[14:15], v[10:11]
	v_fma_f64 v[10:11], v[108:109], s[8:9], -v[76:77]
	v_fma_f64 v[14:15], v[112:113], s[0:1], v[80:81]
	s_delay_alu instid0(VALU_DEP_2) | instskip(SKIP_3) | instid1(VALU_DEP_2)
	v_add_f64_e32 v[10:11], v[10:11], v[193:194]
	s_wait_loadcnt 0x0
	v_add_f64_e32 v[0:1], v[0:1], v[2:3]
	v_fma_f64 v[2:3], v[144:145], s[2:3], v[12:13]
	v_add_f64_e32 v[0:1], v[14:15], v[0:1]
	v_fma_f64 v[14:15], v[104:105], s[0:1], -v[84:85]
	s_delay_alu instid0(VALU_DEP_1) | instskip(SKIP_1) | instid1(VALU_DEP_1)
	v_add_f64_e32 v[10:11], v[14:15], v[10:11]
	v_fma_f64 v[14:15], v[18:19], s[10:11], v[86:87]
	v_add_f64_e32 v[0:1], v[14:15], v[0:1]
	v_fma_f64 v[14:15], v[16:17], s[10:11], -v[88:89]
	s_delay_alu instid0(VALU_DEP_1) | instskip(SKIP_1) | instid1(VALU_DEP_1)
	v_add_f64_e32 v[10:11], v[14:15], v[10:11]
	v_fma_f64 v[14:15], v[120:121], s[20:21], v[90:91]
	v_add_f64_e32 v[0:1], v[14:15], v[0:1]
	v_fma_f64 v[14:15], v[116:117], s[20:21], -v[92:93]
	s_delay_alu instid0(VALU_DEP_1) | instskip(SKIP_1) | instid1(VALU_DEP_2)
	v_add_f64_e32 v[10:11], v[14:15], v[10:11]
	v_fma_f64 v[14:15], v[130:131], s[22:23], v[94:95]
	v_add_f64_e32 v[8:9], v[8:9], v[10:11]
	s_delay_alu instid0(VALU_DEP_2) | instskip(NEXT) | instid1(VALU_DEP_1)
	v_add_f64_e32 v[0:1], v[14:15], v[0:1]
	v_add_f64_e32 v[0:1], v[4:5], v[0:1]
	v_fma_f64 v[4:5], v[128:129], s[16:17], -v[82:83]
	s_delay_alu instid0(VALU_DEP_2)
	v_add_f64_e32 v[195:196], v[2:3], v[0:1]
	s_clause 0x1
	scratch_load_b64 v[0:1], off, off offset:412 th:TH_LOAD_LU
	scratch_load_b64 v[2:3], off, off offset:212 th:TH_LOAD_LU
	v_add_f64_e32 v[4:5], v[4:5], v[8:9]
	scratch_load_b64 v[8:9], off, off offset:188 th:TH_LOAD_LU ; 8-byte Folded Reload
	v_add_f64_e32 v[193:194], v[6:7], v[4:5]
	scratch_load_b64 v[4:5], off, off offset:204 th:TH_LOAD_LU ; 8-byte Folded Reload
	v_fma_f64 v[6:7], v[140:141], s[22:23], -v[46:47]
	s_wait_loadcnt 0x3
	v_fma_f64 v[0:1], v[106:107], s[16:17], v[0:1]
	s_wait_loadcnt 0x2
	s_delay_alu instid0(VALU_DEP_1) | instskip(SKIP_2) | instid1(VALU_DEP_1)
	v_add_f64_e32 v[0:1], v[0:1], v[2:3]
	v_fma_f64 v[2:3], v[108:109], s[16:17], -v[38:39]
	s_wait_loadcnt 0x0
	v_add_f64_e32 v[2:3], v[2:3], v[4:5]
	v_fma_f64 v[4:5], v[112:113], s[8:9], v[44:45]
	s_delay_alu instid0(VALU_DEP_1) | instskip(SKIP_1) | instid1(VALU_DEP_1)
	v_add_f64_e32 v[0:1], v[4:5], v[0:1]
	v_fma_f64 v[4:5], v[104:105], s[8:9], -v[48:49]
	v_add_f64_e32 v[2:3], v[4:5], v[2:3]
	v_fma_f64 v[4:5], v[18:19], s[0:1], v[50:51]
	s_delay_alu instid0(VALU_DEP_1) | instskip(SKIP_1) | instid1(VALU_DEP_1)
	v_add_f64_e32 v[0:1], v[4:5], v[0:1]
	v_fma_f64 v[4:5], v[16:17], s[0:1], -v[52:53]
	;; [unrolled: 5-line block ×4, first 2 shown]
	v_add_f64_e32 v[2:3], v[4:5], v[2:3]
	v_fma_f64 v[4:5], v[136:137], s[18:19], v[62:63]
	v_dual_mov_b32 v63, v35 :: v_dual_mov_b32 v62, v34
	v_dual_mov_b32 v61, v33 :: v_dual_mov_b32 v60, v32
	s_delay_alu instid0(VALU_DEP_3) | instskip(SKIP_1) | instid1(VALU_DEP_1)
	v_add_f64_e32 v[0:1], v[4:5], v[0:1]
	v_fma_f64 v[4:5], v[128:129], s[18:19], -v[72:73]
	v_add_f64_e32 v[2:3], v[4:5], v[2:3]
	v_fma_f64 v[4:5], v[144:145], s[22:23], v[74:75]
	s_delay_alu instid0(VALU_DEP_2) | instskip(NEXT) | instid1(VALU_DEP_2)
	v_add_f64_e32 v[100:101], v[6:7], v[2:3]
	v_add_f64_e32 v[102:103], v[4:5], v[0:1]
	s_clause 0x3
	scratch_load_b64 v[0:1], off, off offset:316 th:TH_LOAD_LU
	scratch_load_b64 v[2:3], off, off offset:324 th:TH_LOAD_LU
	;; [unrolled: 1-line block ×4, first 2 shown]
	s_wait_loadcnt 0x3
	v_fma_f64 v[0:1], v[106:107], s[20:21], v[0:1]
	s_wait_loadcnt 0x2
	v_fma_f64 v[2:3], v[108:109], s[20:21], -v[2:3]
	s_wait_loadcnt 0x1
	s_delay_alu instid0(VALU_DEP_2)
	v_add_f64_e32 v[0:1], v[0:1], v[6:7]
	scratch_load_b64 v[6:7], off, off offset:340 th:TH_LOAD_LU ; 8-byte Folded Reload
	v_add_f64_e32 v[2:3], v[2:3], v[8:9]
	scratch_load_b64 v[8:9], off, off offset:348 th:TH_LOAD_LU ; 8-byte Folded Reload
	s_wait_loadcnt 0x2
	v_fma_f64 v[4:5], v[112:113], s[18:19], v[4:5]
	s_delay_alu instid0(VALU_DEP_1)
	v_add_f64_e32 v[0:1], v[4:5], v[0:1]
	scratch_load_b64 v[4:5], off, off offset:356 th:TH_LOAD_LU ; 8-byte Folded Reload
	s_wait_loadcnt 0x2
	v_fma_f64 v[6:7], v[104:105], s[18:19], -v[6:7]
	s_wait_loadcnt 0x1
	v_fma_f64 v[8:9], v[18:19], s[16:17], v[8:9]
	s_delay_alu instid0(VALU_DEP_2)
	v_add_f64_e32 v[2:3], v[6:7], v[2:3]
	scratch_load_b64 v[6:7], off, off offset:364 th:TH_LOAD_LU ; 8-byte Folded Reload
	v_add_f64_e32 v[0:1], v[8:9], v[0:1]
	scratch_load_b64 v[8:9], off, off offset:372 th:TH_LOAD_LU ; 8-byte Folded Reload
	s_wait_loadcnt 0x2
	v_fma_f64 v[4:5], v[16:17], s[16:17], -v[4:5]
	s_delay_alu instid0(VALU_DEP_1)
	v_add_f64_e32 v[2:3], v[4:5], v[2:3]
	scratch_load_b64 v[4:5], off, off offset:380 th:TH_LOAD_LU ; 8-byte Folded Reload
	s_wait_loadcnt 0x2
	v_fma_f64 v[6:7], v[120:121], s[10:11], v[6:7]
	s_wait_loadcnt 0x1
	v_fma_f64 v[8:9], v[116:117], s[10:11], -v[8:9]
	s_delay_alu instid0(VALU_DEP_2)
	v_add_f64_e32 v[0:1], v[6:7], v[0:1]
	scratch_load_b64 v[6:7], off, off offset:388 th:TH_LOAD_LU ; 8-byte Folded Reload
	v_add_f64_e32 v[2:3], v[8:9], v[2:3]
	scratch_load_b64 v[8:9], off, off offset:396 th:TH_LOAD_LU ; 8-byte Folded Reload
	s_wait_loadcnt 0x2
	v_fma_f64 v[4:5], v[130:131], s[8:9], v[4:5]
	s_delay_alu instid0(VALU_DEP_1)
	v_add_f64_e32 v[0:1], v[4:5], v[0:1]
	v_fma_f64 v[4:5], v[128:129], s[2:3], -v[219:220]
	s_wait_loadcnt 0x1
	v_fma_f64 v[6:7], v[124:125], s[8:9], -v[6:7]
	s_wait_loadcnt 0x0
	v_fma_f64 v[8:9], v[136:137], s[2:3], v[8:9]
	s_delay_alu instid0(VALU_DEP_2) | instskip(SKIP_1) | instid1(VALU_DEP_3)
	v_add_f64_e32 v[2:3], v[6:7], v[2:3]
	v_fma_f64 v[6:7], v[144:145], s[0:1], v[96:97]
	v_add_f64_e32 v[0:1], v[8:9], v[0:1]
	scratch_load_b64 v[8:9], off, off offset:404 th:TH_LOAD_LU ; 8-byte Folded Reload
	v_add_f64_e32 v[2:3], v[4:5], v[2:3]
	v_add_f64_e32 v[18:19], v[6:7], v[0:1]
	scratch_load_b32 v0, off, off offset:8  ; 4-byte Folded Reload
	s_wait_loadcnt 0x1
	v_fma_f64 v[8:9], v[140:141], s[0:1], -v[8:9]
	s_delay_alu instid0(VALU_DEP_1) | instskip(SKIP_3) | instid1(VALU_DEP_1)
	v_add_f64_e32 v[16:17], v[8:9], v[2:3]
	scratch_load_b128 v[1:4], off, off offset:140 th:TH_LOAD_LU ; 16-byte Folded Reload
	s_wait_loadcnt 0x1
	v_mul_lo_u16 v0, v0, 17
	v_and_b32_e32 v0, 0xffff, v0
	s_delay_alu instid0(VALU_DEP_1)
	v_lshlrev_b32_e32 v0, 4, v0
	s_wait_loadcnt 0x0
	ds_store_b128 v0, v[1:4]
	ds_store_b128 v0, v[173:176] offset:16
	ds_store_b128 v0, v[177:180] offset:32
	;; [unrolled: 1-line block ×6, first 2 shown]
	scratch_load_b128 v[1:4], off, off offset:260 th:TH_LOAD_LU ; 16-byte Folded Reload
	s_wait_loadcnt 0x0
	ds_store_b128 v0, v[1:4] offset:112
	scratch_load_b128 v[1:4], off, off offset:172 th:TH_LOAD_LU ; 16-byte Folded Reload
	s_wait_loadcnt 0x0
	ds_store_b128 v0, v[1:4] offset:128
	;; [unrolled: 3-line block ×5, first 2 shown]
	ds_store_b128 v0, v[153:156] offset:192
	ds_store_b128 v0, v[189:192] offset:208
	;; [unrolled: 1-line block ×5, first 2 shown]
.LBB0_13:
	s_or_b32 exec_lo, exec_lo, s33
	global_wb scope:SCOPE_SE
	s_wait_storecnt_dscnt 0x0
	s_barrier_signal -1
	s_barrier_wait -1
	global_inv scope:SCOPE_SE
	ds_load_b128 v[0:3], v159 offset:3264
	ds_load_b128 v[4:7], v159 offset:6528
	;; [unrolled: 1-line block ×8, first 2 shown]
	scratch_load_b128 v[72:75], off, off offset:16 th:TH_LOAD_LU ; 16-byte Folded Reload
	s_mov_b32 s2, 0xe8584caa
	s_mov_b32 s3, 0xbfebb67a
	;; [unrolled: 1-line block ×3, first 2 shown]
	s_wait_alu 0xfffe
	s_mov_b32 s0, s2
	s_wait_dscnt 0x7
	v_mul_f64_e32 v[22:23], v[239:240], v[0:1]
	s_wait_dscnt 0x6
	v_mul_f64_e32 v[34:35], v[243:244], v[4:5]
	v_mul_f64_e32 v[20:21], v[239:240], v[2:3]
	;; [unrolled: 1-line block ×3, first 2 shown]
	s_wait_dscnt 0x3
	v_mul_f64_e32 v[46:47], v[235:236], v[16:17]
	s_wait_dscnt 0x2
	v_mul_f64_e32 v[50:51], v[62:63], v[96:97]
	v_mul_f64_e32 v[44:45], v[235:236], v[18:19]
	s_wait_dscnt 0x0
	v_mul_f64_e32 v[58:59], v[247:248], v[104:105]
	v_mul_f64_e32 v[48:49], v[62:63], v[98:99]
	;; [unrolled: 1-line block ×7, first 2 shown]
	v_fma_f64 v[22:23], v[237:238], v[2:3], -v[22:23]
	v_fma_f64 v[34:35], v[241:242], v[6:7], -v[34:35]
	v_fma_f64 v[20:21], v[237:238], v[0:1], v[20:21]
	v_fma_f64 v[32:33], v[241:242], v[4:5], v[32:33]
	v_fma_f64 v[18:19], v[233:234], v[18:19], -v[46:47]
	v_fma_f64 v[46:47], v[60:61], v[98:99], -v[50:51]
	ds_load_b128 v[0:3], v159
	ds_load_b128 v[4:7], v159 offset:816
	v_fma_f64 v[16:17], v[233:234], v[16:17], v[44:45]
	v_fma_f64 v[44:45], v[60:61], v[96:97], v[48:49]
	v_fma_f64 v[36:37], v[250:251], v[8:9], v[36:37]
	v_fma_f64 v[38:39], v[250:251], v[10:11], -v[38:39]
	v_fma_f64 v[40:41], v[229:230], v[12:13], v[40:41]
	v_fma_f64 v[42:43], v[229:230], v[14:15], -v[42:43]
	ds_load_b128 v[8:11], v159 offset:1632
	ds_load_b128 v[12:15], v159 offset:2448
	global_wb scope:SCOPE_SE
	s_wait_loadcnt_dscnt 0x0
	s_barrier_signal -1
	s_barrier_wait -1
	global_inv scope:SCOPE_SE
	v_add_f64_e64 v[82:83], v[22:23], -v[34:35]
	v_add_f64_e32 v[80:81], v[0:1], v[20:21]
	v_add_f64_e32 v[90:91], v[10:11], v[18:19]
	v_add_f64_e64 v[98:99], v[18:19], -v[46:47]
	v_add_f64_e32 v[88:89], v[8:9], v[16:17]
	v_add_f64_e32 v[84:85], v[4:5], v[36:37]
	;; [unrolled: 1-line block ×5, first 2 shown]
	v_add_f64_e64 v[38:39], v[38:39], -v[42:43]
	v_add_f64_e64 v[96:97], v[36:37], -v[40:41]
	s_delay_alu instid0(VALU_DEP_4) | instskip(NEXT) | instid1(VALU_DEP_4)
	v_fma_f64 v[60:61], v[60:61], -0.5, v[4:5]
	v_fma_f64 v[62:63], v[62:63], -0.5, v[6:7]
	v_add_f64_e32 v[4:5], v[84:85], v[40:41]
	v_add_f64_e32 v[6:7], v[86:87], v[42:43]
	s_delay_alu instid0(VALU_DEP_4)
	v_fma_f64 v[36:37], v[38:39], s[2:3], v[60:61]
	s_wait_alu 0xfffe
	v_fma_f64 v[40:41], v[38:39], s[0:1], v[60:61]
	v_fma_f64 v[38:39], v[96:97], s[0:1], v[62:63]
	;; [unrolled: 1-line block ×3, first 2 shown]
	v_mul_f64_e32 v[54:55], v[74:75], v[100:101]
	v_mul_f64_e32 v[52:53], v[74:75], v[102:103]
	v_add_f64_e32 v[74:75], v[18:19], v[46:47]
	s_delay_alu instid0(VALU_DEP_3)
	v_fma_f64 v[50:51], v[72:73], v[102:103], -v[54:55]
	v_fma_f64 v[54:55], v[245:246], v[106:107], -v[58:59]
	v_add_f64_e32 v[58:59], v[22:23], v[34:35]
	v_fma_f64 v[48:49], v[72:73], v[100:101], v[52:53]
	v_fma_f64 v[52:53], v[245:246], v[104:105], v[56:57]
	v_add_f64_e32 v[56:57], v[20:21], v[32:33]
	v_add_f64_e32 v[22:23], v[2:3], v[22:23]
	v_add_f64_e64 v[20:21], v[20:21], -v[32:33]
	v_add_f64_e32 v[72:73], v[16:17], v[44:45]
	v_add_f64_e64 v[100:101], v[16:17], -v[44:45]
	v_fma_f64 v[74:75], v[74:75], -0.5, v[10:11]
	v_add_f64_e32 v[10:11], v[90:91], v[46:47]
	v_add_f64_e32 v[94:95], v[14:15], v[50:51]
	;; [unrolled: 1-line block ×3, first 2 shown]
	v_fma_f64 v[58:59], v[58:59], -0.5, v[2:3]
	v_add_f64_e32 v[92:93], v[12:13], v[48:49]
	v_add_f64_e32 v[76:77], v[48:49], v[52:53]
	v_fma_f64 v[56:57], v[56:57], -0.5, v[0:1]
	v_add_f64_e32 v[2:3], v[22:23], v[34:35]
	v_add_f64_e64 v[102:103], v[50:51], -v[54:55]
	v_fma_f64 v[72:73], v[72:73], -0.5, v[8:9]
	v_add_f64_e64 v[104:105], v[48:49], -v[52:53]
	v_add_f64_e32 v[0:1], v[80:81], v[32:33]
	v_add_f64_e32 v[8:9], v[88:89], v[44:45]
	v_fma_f64 v[46:47], v[100:101], s[0:1], v[74:75]
	v_fma_f64 v[50:51], v[100:101], s[2:3], v[74:75]
	v_fma_f64 v[78:79], v[78:79], -0.5, v[14:15]
	v_fma_f64 v[18:19], v[20:21], s[0:1], v[58:59]
	v_fma_f64 v[34:35], v[20:21], s[2:3], v[58:59]
	scratch_load_b32 v20, off, off offset:128 th:TH_LOAD_LU ; 4-byte Folded Reload
	v_fma_f64 v[76:77], v[76:77], -0.5, v[12:13]
	v_fma_f64 v[16:17], v[82:83], s[2:3], v[56:57]
	v_fma_f64 v[32:33], v[82:83], s[0:1], v[56:57]
	;; [unrolled: 1-line block ×4, first 2 shown]
	v_add_f64_e32 v[12:13], v[92:93], v[52:53]
	v_add_f64_e32 v[14:15], v[94:95], v[54:55]
	v_fma_f64 v[54:55], v[104:105], s[0:1], v[78:79]
	v_fma_f64 v[58:59], v[104:105], s[2:3], v[78:79]
	;; [unrolled: 1-line block ×4, first 2 shown]
	s_wait_loadcnt 0x0
	ds_store_b128 v20, v[0:3]
	ds_store_b128 v20, v[16:19] offset:272
	ds_store_b128 v20, v[32:35] offset:544
	ds_store_b128 v254, v[4:7]
	ds_store_b128 v254, v[36:39] offset:272
	ds_store_b128 v254, v[40:43] offset:544
	;; [unrolled: 3-line block ×4, first 2 shown]
	global_wb scope:SCOPE_SE
	s_wait_dscnt 0x0
	s_barrier_signal -1
	s_barrier_wait -1
	global_inv scope:SCOPE_SE
	ds_load_b128 v[0:3], v159 offset:4896
	ds_load_b128 v[4:7], v159 offset:8160
	ds_load_b128 v[8:11], v159 offset:5712
	ds_load_b128 v[12:15], v159 offset:8976
	ds_load_b128 v[16:19], v159 offset:1632
	ds_load_b128 v[32:35], v159 offset:2448
	s_wait_dscnt 0x5
	v_mul_f64_e32 v[20:21], v[66:67], v[0:1]
	s_wait_dscnt 0x4
	v_mul_f64_e32 v[22:23], v[70:71], v[4:5]
	;; [unrolled: 2-line block ×5, first 2 shown]
	v_mul_f64_e32 v[54:55], v[66:67], v[2:3]
	v_mul_f64_e32 v[56:57], v[70:71], v[6:7]
	;; [unrolled: 1-line block ×4, first 2 shown]
	s_wait_dscnt 0x0
	v_mul_f64_e32 v[74:75], v[162:163], v[34:35]
	v_fma_f64 v[20:21], v[64:65], v[2:3], -v[20:21]
	v_fma_f64 v[22:23], v[68:69], v[6:7], -v[22:23]
	v_mul_f64_e32 v[2:3], v[162:163], v[32:33]
	v_mul_f64_e32 v[6:7], v[66:67], v[10:11]
	v_fma_f64 v[10:11], v[64:65], v[10:11], -v[36:37]
	v_fma_f64 v[14:15], v[68:69], v[14:15], -v[38:39]
	ds_load_b128 v[36:39], v159 offset:3264
	ds_load_b128 v[40:43], v159 offset:6528
	;; [unrolled: 1-line block ×4, first 2 shown]
	v_fma_f64 v[54:55], v[64:65], v[0:1], v[54:55]
	v_fma_f64 v[56:57], v[68:69], v[4:5], v[56:57]
	v_fma_f64 v[18:19], v[160:161], v[18:19], -v[52:53]
	v_fma_f64 v[12:13], v[68:69], v[12:13], v[58:59]
	v_fma_f64 v[16:17], v[160:161], v[16:17], v[60:61]
	s_wait_dscnt 0x3
	v_mul_f64_e32 v[62:63], v[30:31], v[38:39]
	v_mul_f64_e32 v[66:67], v[30:31], v[36:37]
	s_wait_dscnt 0x2
	v_mul_f64_e32 v[70:71], v[26:27], v[42:43]
	v_mul_f64_e32 v[72:73], v[26:27], v[40:41]
	;; [unrolled: 3-line block ×4, first 2 shown]
	v_add_f64_e32 v[0:1], v[20:21], v[22:23]
	v_fma_f64 v[34:35], v[160:161], v[34:35], -v[2:3]
	v_fma_f64 v[8:9], v[64:65], v[8:9], v[6:7]
	v_add_f64_e32 v[2:3], v[10:11], v[14:15]
	v_add_f64_e64 v[68:69], v[10:11], -v[14:15]
	v_add_f64_e32 v[6:7], v[54:55], v[56:57]
	v_add_f64_e64 v[58:59], v[54:55], -v[56:57]
	v_fma_f64 v[36:37], v[28:29], v[36:37], v[62:63]
	v_fma_f64 v[38:39], v[28:29], v[38:39], -v[66:67]
	v_fma_f64 v[40:41], v[24:25], v[40:41], v[70:71]
	v_fma_f64 v[42:43], v[24:25], v[42:43], -v[72:73]
	;; [unrolled: 2-line block ×4, first 2 shown]
	v_fma_f64 v[26:27], v[160:161], v[32:33], v[74:75]
	v_add_f64_e64 v[52:53], v[20:21], -v[22:23]
	v_fma_f64 v[0:1], v[0:1], -0.5, v[18:19]
	v_add_f64_e32 v[18:19], v[18:19], v[20:21]
	v_add_f64_e32 v[4:5], v[8:9], v[12:13]
	v_add_f64_e64 v[32:33], v[8:9], -v[12:13]
	v_fma_f64 v[46:47], v[2:3], -0.5, v[34:35]
	v_add_f64_e32 v[10:11], v[34:35], v[10:11]
	v_fma_f64 v[60:61], v[6:7], -0.5, v[16:17]
	v_add_f64_e32 v[16:17], v[16:17], v[54:55]
	v_add_f64_e32 v[48:49], v[36:37], v[40:41]
	;; [unrolled: 1-line block ×3, first 2 shown]
	v_add_f64_e64 v[74:75], v[38:39], -v[42:43]
	v_add_f64_e32 v[64:65], v[44:45], v[30:31]
	v_add_f64_e32 v[66:67], v[28:29], v[24:25]
	v_add_f64_e64 v[54:55], v[28:29], -v[24:25]
	v_add_f64_e32 v[8:9], v[26:27], v[8:9]
	v_fma_f64 v[62:63], v[58:59], s[0:1], v[0:1]
	v_fma_f64 v[58:59], v[58:59], s[2:3], v[0:1]
	v_fma_f64 v[70:71], v[4:5], -0.5, v[26:27]
	ds_load_b128 v[0:3], v159
	ds_load_b128 v[4:7], v159 offset:816
	v_fma_f64 v[72:73], v[32:33], s[0:1], v[46:47]
	v_fma_f64 v[32:33], v[32:33], s[2:3], v[46:47]
	;; [unrolled: 1-line block ×4, first 2 shown]
	v_add_f64_e32 v[16:17], v[16:17], v[56:57]
	v_add_f64_e32 v[18:19], v[18:19], v[22:23]
	;; [unrolled: 1-line block ×3, first 2 shown]
	global_wb scope:SCOPE_SE
	s_wait_dscnt 0x0
	s_barrier_signal -1
	s_barrier_wait -1
	global_inv scope:SCOPE_SE
	v_add_f64_e32 v[46:47], v[0:1], v[36:37]
	v_add_f64_e32 v[38:39], v[2:3], v[38:39]
	v_add_f64_e64 v[36:37], v[36:37], -v[40:41]
	v_add_f64_e32 v[20:21], v[4:5], v[44:45]
	v_add_f64_e32 v[28:29], v[6:7], v[28:29]
	v_fma_f64 v[0:1], v[48:49], -0.5, v[0:1]
	v_fma_f64 v[2:3], v[50:51], -0.5, v[2:3]
	v_add_f64_e64 v[44:45], v[44:45], -v[30:31]
	v_fma_f64 v[4:5], v[64:65], -0.5, v[4:5]
	v_fma_f64 v[6:7], v[66:67], -0.5, v[6:7]
	v_add_f64_e32 v[12:13], v[8:9], v[12:13]
	v_mul_f64_e32 v[48:49], s[2:3], v[62:63]
	v_mul_f64_e32 v[52:53], 0.5, v[62:63]
	v_mul_f64_e32 v[50:51], s[2:3], v[58:59]
	v_mul_f64_e32 v[58:59], -0.5, v[58:59]
	v_fma_f64 v[60:61], v[68:69], s[2:3], v[70:71]
	v_fma_f64 v[62:63], v[68:69], s[0:1], v[70:71]
	v_mul_f64_e32 v[64:65], s[2:3], v[72:73]
	v_mul_f64_e32 v[68:69], 0.5, v[72:73]
	v_mul_f64_e32 v[66:67], s[2:3], v[32:33]
	v_mul_f64_e32 v[32:33], -0.5, v[32:33]
	v_add_f64_e32 v[40:41], v[46:47], v[40:41]
	v_add_f64_e32 v[38:39], v[38:39], v[42:43]
	v_add_f64_e32 v[20:21], v[20:21], v[30:31]
	v_add_f64_e32 v[22:23], v[28:29], v[24:25]
	v_fma_f64 v[24:25], v[74:75], s[2:3], v[0:1]
	v_fma_f64 v[30:31], v[36:37], s[0:1], v[2:3]
	;; [unrolled: 1-line block ×4, first 2 shown]
	v_fma_f64 v[42:43], v[26:27], 0.5, v[48:49]
	v_fma_f64 v[26:27], v[26:27], s[0:1], v[52:53]
	v_fma_f64 v[46:47], v[34:35], -0.5, v[50:51]
	v_fma_f64 v[34:35], v[34:35], s[0:1], v[58:59]
	v_fma_f64 v[48:49], v[54:55], s[2:3], v[4:5]
	;; [unrolled: 1-line block ×5, first 2 shown]
	v_fma_f64 v[44:45], v[60:61], 0.5, v[64:65]
	v_fma_f64 v[58:59], v[60:61], s[0:1], v[68:69]
	v_fma_f64 v[56:57], v[62:63], -0.5, v[66:67]
	v_fma_f64 v[60:61], v[62:63], s[0:1], v[32:33]
	v_add_f64_e32 v[0:1], v[40:41], v[16:17]
	v_add_f64_e32 v[2:3], v[38:39], v[18:19]
	v_add_f64_e64 v[4:5], v[40:41], -v[16:17]
	v_add_f64_e64 v[6:7], v[38:39], -v[18:19]
	v_add_f64_e32 v[8:9], v[20:21], v[12:13]
	v_add_f64_e32 v[10:11], v[22:23], v[14:15]
	v_add_f64_e64 v[12:13], v[20:21], -v[12:13]
	v_add_f64_e64 v[14:15], v[22:23], -v[14:15]
	v_add_f64_e32 v[16:17], v[24:25], v[42:43]
	v_add_f64_e32 v[18:19], v[30:31], v[26:27]
	;; [unrolled: 1-line block ×4, first 2 shown]
	v_add_f64_e64 v[24:25], v[24:25], -v[42:43]
	v_add_f64_e64 v[26:27], v[30:31], -v[26:27]
	v_add_f64_e64 v[28:29], v[28:29], -v[46:47]
	v_add_f64_e64 v[30:31], v[36:37], -v[34:35]
	v_add_f64_e32 v[32:33], v[48:49], v[44:45]
	v_add_f64_e32 v[34:35], v[52:53], v[58:59]
	;; [unrolled: 1-line block ×4, first 2 shown]
	v_add_f64_e64 v[40:41], v[48:49], -v[44:45]
	v_add_f64_e64 v[42:43], v[52:53], -v[58:59]
	;; [unrolled: 1-line block ×4, first 2 shown]
	ds_store_b128 v159, v[0:3]
	ds_store_b128 v159, v[16:19] offset:816
	ds_store_b128 v159, v[20:23] offset:1632
	;; [unrolled: 1-line block ×11, first 2 shown]
	global_wb scope:SCOPE_SE
	s_wait_dscnt 0x0
	s_barrier_signal -1
	s_barrier_wait -1
	global_inv scope:SCOPE_SE
	ds_load_b128 v[0:3], v159 offset:4896
	ds_load_b128 v[4:7], v159 offset:5712
	;; [unrolled: 1-line block ×6, first 2 shown]
	scratch_load_b128 v[48:51], off, off offset:32 th:TH_LOAD_LU ; 16-byte Folded Reload
	s_wait_loadcnt_dscnt 0x5
	v_mul_f64_e32 v[24:25], v[50:51], v[2:3]
	v_mul_f64_e32 v[26:27], v[50:51], v[0:1]
	scratch_load_b128 v[50:53], off, off offset:48 th:TH_LOAD_LU ; 16-byte Folded Reload
	v_fma_f64 v[24:25], v[48:49], v[0:1], v[24:25]
	v_fma_f64 v[26:27], v[48:49], v[2:3], -v[26:27]
	s_wait_loadcnt_dscnt 0x4
	v_mul_f64_e32 v[28:29], v[52:53], v[6:7]
	v_mul_f64_e32 v[30:31], v[52:53], v[4:5]
	scratch_load_b128 v[52:55], off, off offset:64 th:TH_LOAD_LU ; 16-byte Folded Reload
	v_fma_f64 v[28:29], v[50:51], v[4:5], v[28:29]
	v_fma_f64 v[30:31], v[50:51], v[6:7], -v[30:31]
	;; [unrolled: 6-line block ×5, first 2 shown]
	s_wait_loadcnt_dscnt 0x0
	v_mul_f64_e32 v[44:45], v[60:61], v[22:23]
	v_mul_f64_e32 v[46:47], v[60:61], v[20:21]
	s_delay_alu instid0(VALU_DEP_2) | instskip(NEXT) | instid1(VALU_DEP_2)
	v_fma_f64 v[44:45], v[58:59], v[20:21], v[44:45]
	v_fma_f64 v[46:47], v[58:59], v[22:23], -v[46:47]
	ds_load_b128 v[0:3], v159
	ds_load_b128 v[4:7], v159 offset:816
	ds_load_b128 v[8:11], v159 offset:1632
	;; [unrolled: 1-line block ×5, first 2 shown]
	s_wait_dscnt 0x5
	v_add_f64_e64 v[24:25], v[0:1], -v[24:25]
	v_add_f64_e64 v[26:27], v[2:3], -v[26:27]
	s_wait_dscnt 0x4
	v_add_f64_e64 v[28:29], v[4:5], -v[28:29]
	v_add_f64_e64 v[30:31], v[6:7], -v[30:31]
	;; [unrolled: 3-line block ×6, first 2 shown]
	v_fma_f64 v[0:1], v[0:1], 2.0, -v[24:25]
	v_fma_f64 v[2:3], v[2:3], 2.0, -v[26:27]
	;; [unrolled: 1-line block ×12, first 2 shown]
	ds_store_b128 v159, v[24:27] offset:4896
	ds_store_b128 v159, v[28:31] offset:5712
	;; [unrolled: 1-line block ×6, first 2 shown]
	ds_store_b128 v159, v[0:3]
	ds_store_b128 v159, v[4:7] offset:816
	ds_store_b128 v159, v[8:11] offset:1632
	;; [unrolled: 1-line block ×5, first 2 shown]
	global_wb scope:SCOPE_SE
	s_wait_dscnt 0x0
	s_barrier_signal -1
	s_barrier_wait -1
	global_inv scope:SCOPE_SE
	s_and_b32 exec_lo, exec_lo, vcc_lo
	s_cbranch_execz .LBB0_15
; %bb.14:
	global_load_b128 v[0:3], v255, s[12:13]
	ds_load_b128 v[4:7], v159
	ds_load_b128 v[8:11], v152 offset:576
	s_mov_b32 s0, 0x1ac5701b
	s_mov_b32 s1, 0x3f5ac570
	s_mul_u64 s[2:3], s[4:5], 0x240
	scratch_load_b32 v15, off, off offset:8 th:TH_LOAD_LU ; 4-byte Folded Reload
	s_wait_loadcnt_dscnt 0x101
	v_mul_f64_e32 v[12:13], v[6:7], v[2:3]
	v_mul_f64_e32 v[2:3], v[4:5], v[2:3]
	s_delay_alu instid0(VALU_DEP_2) | instskip(NEXT) | instid1(VALU_DEP_2)
	v_fma_f64 v[4:5], v[4:5], v[0:1], v[12:13]
	v_fma_f64 v[0:1], v[0:1], v[6:7], -v[2:3]
	scratch_load_b64 v[2:3], off, off th:TH_LOAD_LU ; 8-byte Folded Reload
	s_wait_loadcnt 0x1
	v_mad_co_u64_u32 v[12:13], null, s4, v15, 0
	s_wait_loadcnt 0x0
	v_mov_b32_e32 v14, v2
	s_wait_alu 0xfffe
	v_mul_f64_e32 v[2:3], s[0:1], v[4:5]
	v_mul_f64_e32 v[4:5], s[0:1], v[0:1]
	s_delay_alu instid0(VALU_DEP_4) | instskip(SKIP_1) | instid1(VALU_DEP_1)
	v_mov_b32_e32 v1, v13
	v_mad_co_u64_u32 v[6:7], null, s6, v14, 0
	v_mov_b32_e32 v0, v7
	s_delay_alu instid0(VALU_DEP_1) | instskip(NEXT) | instid1(VALU_DEP_1)
	v_mad_co_u64_u32 v[13:14], null, s7, v14, v[0:1]
	v_mov_b32_e32 v7, v13
	v_mad_co_u64_u32 v[0:1], null, s5, v15, v[1:2]
	s_delay_alu instid0(VALU_DEP_1) | instskip(NEXT) | instid1(VALU_DEP_3)
	v_mov_b32_e32 v13, v0
	v_lshlrev_b64_e32 v[0:1], 4, v[6:7]
	s_delay_alu instid0(VALU_DEP_2) | instskip(NEXT) | instid1(VALU_DEP_2)
	v_lshlrev_b64_e32 v[6:7], 4, v[12:13]
	v_add_co_u32 v0, vcc_lo, s14, v0
	s_delay_alu instid0(VALU_DEP_3) | instskip(NEXT) | instid1(VALU_DEP_2)
	v_add_co_ci_u32_e32 v1, vcc_lo, s15, v1, vcc_lo
	v_add_co_u32 v6, vcc_lo, v0, v6
	s_wait_alu 0xfffd
	s_delay_alu instid0(VALU_DEP_2) | instskip(NEXT) | instid1(VALU_DEP_2)
	v_add_co_ci_u32_e32 v7, vcc_lo, v1, v7, vcc_lo
	v_add_co_u32 v14, vcc_lo, v6, s2
	global_store_b128 v[6:7], v[2:5], off
	global_load_b128 v[2:5], v255, s[12:13] offset:576
	s_wait_alu 0xfffd
	v_add_co_ci_u32_e32 v15, vcc_lo, s3, v7, vcc_lo
	s_wait_loadcnt_dscnt 0x0
	v_mul_f64_e32 v[12:13], v[10:11], v[4:5]
	v_mul_f64_e32 v[4:5], v[8:9], v[4:5]
	s_delay_alu instid0(VALU_DEP_2) | instskip(NEXT) | instid1(VALU_DEP_2)
	v_fma_f64 v[8:9], v[8:9], v[2:3], v[12:13]
	v_fma_f64 v[4:5], v[2:3], v[10:11], -v[4:5]
	s_delay_alu instid0(VALU_DEP_2) | instskip(NEXT) | instid1(VALU_DEP_2)
	v_mul_f64_e32 v[2:3], s[0:1], v[8:9]
	v_mul_f64_e32 v[4:5], s[0:1], v[4:5]
	global_store_b128 v[14:15], v[2:5], off
	global_load_b128 v[2:5], v255, s[12:13] offset:1152
	ds_load_b128 v[6:9], v152 offset:1152
	ds_load_b128 v[10:13], v152 offset:1728
	s_wait_loadcnt_dscnt 0x1
	v_mul_f64_e32 v[16:17], v[8:9], v[4:5]
	v_mul_f64_e32 v[4:5], v[6:7], v[4:5]
	s_delay_alu instid0(VALU_DEP_2) | instskip(NEXT) | instid1(VALU_DEP_2)
	v_fma_f64 v[6:7], v[6:7], v[2:3], v[16:17]
	v_fma_f64 v[4:5], v[2:3], v[8:9], -v[4:5]
	s_delay_alu instid0(VALU_DEP_2) | instskip(NEXT) | instid1(VALU_DEP_2)
	v_mul_f64_e32 v[2:3], s[0:1], v[6:7]
	v_mul_f64_e32 v[4:5], s[0:1], v[4:5]
	v_add_co_u32 v6, vcc_lo, v14, s2
	s_wait_alu 0xfffd
	v_add_co_ci_u32_e32 v7, vcc_lo, s3, v15, vcc_lo
	s_delay_alu instid0(VALU_DEP_2) | instskip(SKIP_1) | instid1(VALU_DEP_2)
	v_add_co_u32 v14, vcc_lo, v6, s2
	s_wait_alu 0xfffd
	v_add_co_ci_u32_e32 v15, vcc_lo, s3, v7, vcc_lo
	global_store_b128 v[6:7], v[2:5], off
	global_load_b128 v[2:5], v255, s[12:13] offset:1728
	s_wait_loadcnt_dscnt 0x0
	v_mul_f64_e32 v[8:9], v[12:13], v[4:5]
	v_mul_f64_e32 v[4:5], v[10:11], v[4:5]
	s_delay_alu instid0(VALU_DEP_2) | instskip(NEXT) | instid1(VALU_DEP_2)
	v_fma_f64 v[8:9], v[10:11], v[2:3], v[8:9]
	v_fma_f64 v[4:5], v[2:3], v[12:13], -v[4:5]
	s_delay_alu instid0(VALU_DEP_2) | instskip(NEXT) | instid1(VALU_DEP_2)
	v_mul_f64_e32 v[2:3], s[0:1], v[8:9]
	v_mul_f64_e32 v[4:5], s[0:1], v[4:5]
	global_store_b128 v[14:15], v[2:5], off
	global_load_b128 v[2:5], v255, s[12:13] offset:2304
	ds_load_b128 v[6:9], v152 offset:2304
	ds_load_b128 v[10:13], v152 offset:2880
	s_wait_loadcnt_dscnt 0x1
	v_mul_f64_e32 v[16:17], v[8:9], v[4:5]
	v_mul_f64_e32 v[4:5], v[6:7], v[4:5]
	s_delay_alu instid0(VALU_DEP_2) | instskip(NEXT) | instid1(VALU_DEP_2)
	v_fma_f64 v[6:7], v[6:7], v[2:3], v[16:17]
	v_fma_f64 v[4:5], v[2:3], v[8:9], -v[4:5]
	s_delay_alu instid0(VALU_DEP_2) | instskip(NEXT) | instid1(VALU_DEP_2)
	v_mul_f64_e32 v[2:3], s[0:1], v[6:7]
	v_mul_f64_e32 v[4:5], s[0:1], v[4:5]
	v_add_co_u32 v6, vcc_lo, v14, s2
	s_wait_alu 0xfffd
	v_add_co_ci_u32_e32 v7, vcc_lo, s3, v15, vcc_lo
	s_delay_alu instid0(VALU_DEP_2) | instskip(SKIP_1) | instid1(VALU_DEP_2)
	v_add_co_u32 v14, vcc_lo, v6, s2
	s_wait_alu 0xfffd
	v_add_co_ci_u32_e32 v15, vcc_lo, s3, v7, vcc_lo
	global_store_b128 v[6:7], v[2:5], off
	global_load_b128 v[2:5], v255, s[12:13] offset:2880
	;; [unrolled: 31-line block ×6, first 2 shown]
	s_wait_loadcnt_dscnt 0x0
	v_mul_f64_e32 v[8:9], v[12:13], v[4:5]
	v_mul_f64_e32 v[4:5], v[10:11], v[4:5]
	s_delay_alu instid0(VALU_DEP_2) | instskip(NEXT) | instid1(VALU_DEP_2)
	v_fma_f64 v[8:9], v[10:11], v[2:3], v[8:9]
	v_fma_f64 v[4:5], v[2:3], v[12:13], -v[4:5]
	s_delay_alu instid0(VALU_DEP_2) | instskip(NEXT) | instid1(VALU_DEP_2)
	v_mul_f64_e32 v[2:3], s[0:1], v[8:9]
	v_mul_f64_e32 v[4:5], s[0:1], v[4:5]
	global_store_b128 v[14:15], v[2:5], off
	global_load_b128 v[2:5], v255, s[12:13] offset:8064
	ds_load_b128 v[6:9], v152 offset:8064
	ds_load_b128 v[10:13], v152 offset:8640
	s_wait_loadcnt_dscnt 0x1
	v_mul_f64_e32 v[16:17], v[8:9], v[4:5]
	v_mul_f64_e32 v[4:5], v[6:7], v[4:5]
	s_delay_alu instid0(VALU_DEP_2) | instskip(NEXT) | instid1(VALU_DEP_2)
	v_fma_f64 v[6:7], v[6:7], v[2:3], v[16:17]
	v_fma_f64 v[4:5], v[2:3], v[8:9], -v[4:5]
	s_delay_alu instid0(VALU_DEP_2) | instskip(NEXT) | instid1(VALU_DEP_2)
	v_mul_f64_e32 v[2:3], s[0:1], v[6:7]
	v_mul_f64_e32 v[4:5], s[0:1], v[4:5]
	v_add_co_u32 v6, vcc_lo, v14, s2
	s_wait_alu 0xfffd
	v_add_co_ci_u32_e32 v7, vcc_lo, s3, v15, vcc_lo
	global_store_b128 v[6:7], v[2:5], off
	global_load_b128 v[2:5], v255, s[12:13] offset:8640
	v_add_co_u32 v6, vcc_lo, v6, s2
	s_wait_alu 0xfffd
	v_add_co_ci_u32_e32 v7, vcc_lo, s3, v7, vcc_lo
	s_wait_loadcnt_dscnt 0x0
	v_mul_f64_e32 v[8:9], v[12:13], v[4:5]
	v_mul_f64_e32 v[4:5], v[10:11], v[4:5]
	s_delay_alu instid0(VALU_DEP_2) | instskip(NEXT) | instid1(VALU_DEP_2)
	v_fma_f64 v[8:9], v[10:11], v[2:3], v[8:9]
	v_fma_f64 v[4:5], v[2:3], v[12:13], -v[4:5]
	s_delay_alu instid0(VALU_DEP_2) | instskip(NEXT) | instid1(VALU_DEP_2)
	v_mul_f64_e32 v[2:3], s[0:1], v[8:9]
	v_mul_f64_e32 v[4:5], s[0:1], v[4:5]
	global_store_b128 v[6:7], v[2:5], off
	global_load_b128 v[2:5], v255, s[12:13] offset:9216
	ds_load_b128 v[6:9], v152 offset:9216
	s_wait_loadcnt_dscnt 0x0
	v_mul_f64_e32 v[10:11], v[8:9], v[4:5]
	v_mul_f64_e32 v[4:5], v[6:7], v[4:5]
	s_delay_alu instid0(VALU_DEP_2) | instskip(SKIP_3) | instid1(VALU_DEP_2)
	v_fma_f64 v[6:7], v[6:7], v[2:3], v[10:11]
	scratch_load_b32 v10, off, off offset:136 th:TH_LOAD_LU ; 4-byte Folded Reload
	v_fma_f64 v[4:5], v[2:3], v[8:9], -v[4:5]
	v_mul_f64_e32 v[2:3], s[0:1], v[6:7]
	v_mul_f64_e32 v[4:5], s[0:1], v[4:5]
	s_wait_loadcnt 0x0
	v_mad_co_u64_u32 v[8:9], null, s4, v10, 0
	s_delay_alu instid0(VALU_DEP_1) | instskip(NEXT) | instid1(VALU_DEP_1)
	v_mov_b32_e32 v6, v9
	v_mad_co_u64_u32 v[6:7], null, s5, v10, v[6:7]
	s_delay_alu instid0(VALU_DEP_1) | instskip(NEXT) | instid1(VALU_DEP_1)
	v_mov_b32_e32 v9, v6
	v_lshlrev_b64_e32 v[6:7], 4, v[8:9]
	s_delay_alu instid0(VALU_DEP_1) | instskip(SKIP_1) | instid1(VALU_DEP_2)
	v_add_co_u32 v0, vcc_lo, v0, v6
	s_wait_alu 0xfffd
	v_add_co_ci_u32_e32 v1, vcc_lo, v1, v7, vcc_lo
	global_store_b128 v[0:1], v[2:5], off
.LBB0_15:
	s_endpgm
	.section	.rodata,"a",@progbits
	.p2align	6, 0x0
	.amdhsa_kernel bluestein_single_back_len612_dim1_dp_op_CI_CI
		.amdhsa_group_segment_fixed_size 9792
		.amdhsa_private_segment_fixed_size 424
		.amdhsa_kernarg_size 104
		.amdhsa_user_sgpr_count 2
		.amdhsa_user_sgpr_dispatch_ptr 0
		.amdhsa_user_sgpr_queue_ptr 0
		.amdhsa_user_sgpr_kernarg_segment_ptr 1
		.amdhsa_user_sgpr_dispatch_id 0
		.amdhsa_user_sgpr_private_segment_size 0
		.amdhsa_wavefront_size32 1
		.amdhsa_uses_dynamic_stack 0
		.amdhsa_enable_private_segment 1
		.amdhsa_system_sgpr_workgroup_id_x 1
		.amdhsa_system_sgpr_workgroup_id_y 0
		.amdhsa_system_sgpr_workgroup_id_z 0
		.amdhsa_system_sgpr_workgroup_info 0
		.amdhsa_system_vgpr_workitem_id 0
		.amdhsa_next_free_vgpr 256
		.amdhsa_next_free_sgpr 58
		.amdhsa_reserve_vcc 1
		.amdhsa_float_round_mode_32 0
		.amdhsa_float_round_mode_16_64 0
		.amdhsa_float_denorm_mode_32 3
		.amdhsa_float_denorm_mode_16_64 3
		.amdhsa_fp16_overflow 0
		.amdhsa_workgroup_processor_mode 1
		.amdhsa_memory_ordered 1
		.amdhsa_forward_progress 0
		.amdhsa_round_robin_scheduling 0
		.amdhsa_exception_fp_ieee_invalid_op 0
		.amdhsa_exception_fp_denorm_src 0
		.amdhsa_exception_fp_ieee_div_zero 0
		.amdhsa_exception_fp_ieee_overflow 0
		.amdhsa_exception_fp_ieee_underflow 0
		.amdhsa_exception_fp_ieee_inexact 0
		.amdhsa_exception_int_div_zero 0
	.end_amdhsa_kernel
	.text
.Lfunc_end0:
	.size	bluestein_single_back_len612_dim1_dp_op_CI_CI, .Lfunc_end0-bluestein_single_back_len612_dim1_dp_op_CI_CI
                                        ; -- End function
	.section	.AMDGPU.csdata,"",@progbits
; Kernel info:
; codeLenInByte = 23108
; NumSgprs: 60
; NumVgprs: 256
; ScratchSize: 424
; MemoryBound: 0
; FloatMode: 240
; IeeeMode: 1
; LDSByteSize: 9792 bytes/workgroup (compile time only)
; SGPRBlocks: 7
; VGPRBlocks: 31
; NumSGPRsForWavesPerEU: 60
; NumVGPRsForWavesPerEU: 256
; Occupancy: 5
; WaveLimiterHint : 1
; COMPUTE_PGM_RSRC2:SCRATCH_EN: 1
; COMPUTE_PGM_RSRC2:USER_SGPR: 2
; COMPUTE_PGM_RSRC2:TRAP_HANDLER: 0
; COMPUTE_PGM_RSRC2:TGID_X_EN: 1
; COMPUTE_PGM_RSRC2:TGID_Y_EN: 0
; COMPUTE_PGM_RSRC2:TGID_Z_EN: 0
; COMPUTE_PGM_RSRC2:TIDIG_COMP_CNT: 0
	.text
	.p2alignl 7, 3214868480
	.fill 96, 4, 3214868480
	.type	__hip_cuid_c1bea0605b065ca3,@object ; @__hip_cuid_c1bea0605b065ca3
	.section	.bss,"aw",@nobits
	.globl	__hip_cuid_c1bea0605b065ca3
__hip_cuid_c1bea0605b065ca3:
	.byte	0                               ; 0x0
	.size	__hip_cuid_c1bea0605b065ca3, 1

	.ident	"AMD clang version 19.0.0git (https://github.com/RadeonOpenCompute/llvm-project roc-6.4.0 25133 c7fe45cf4b819c5991fe208aaa96edf142730f1d)"
	.section	".note.GNU-stack","",@progbits
	.addrsig
	.addrsig_sym __hip_cuid_c1bea0605b065ca3
	.amdgpu_metadata
---
amdhsa.kernels:
  - .args:
      - .actual_access:  read_only
        .address_space:  global
        .offset:         0
        .size:           8
        .value_kind:     global_buffer
      - .actual_access:  read_only
        .address_space:  global
        .offset:         8
        .size:           8
        .value_kind:     global_buffer
      - .actual_access:  read_only
        .address_space:  global
        .offset:         16
        .size:           8
        .value_kind:     global_buffer
      - .actual_access:  read_only
        .address_space:  global
        .offset:         24
        .size:           8
        .value_kind:     global_buffer
      - .actual_access:  read_only
        .address_space:  global
        .offset:         32
        .size:           8
        .value_kind:     global_buffer
      - .offset:         40
        .size:           8
        .value_kind:     by_value
      - .address_space:  global
        .offset:         48
        .size:           8
        .value_kind:     global_buffer
      - .address_space:  global
        .offset:         56
        .size:           8
        .value_kind:     global_buffer
      - .address_space:  global
        .offset:         64
        .size:           8
        .value_kind:     global_buffer
      - .address_space:  global
        .offset:         72
        .size:           8
        .value_kind:     global_buffer
      - .offset:         80
        .size:           4
        .value_kind:     by_value
      - .address_space:  global
        .offset:         88
        .size:           8
        .value_kind:     global_buffer
      - .address_space:  global
        .offset:         96
        .size:           8
        .value_kind:     global_buffer
    .group_segment_fixed_size: 9792
    .kernarg_segment_align: 8
    .kernarg_segment_size: 104
    .language:       OpenCL C
    .language_version:
      - 2
      - 0
    .max_flat_workgroup_size: 51
    .name:           bluestein_single_back_len612_dim1_dp_op_CI_CI
    .private_segment_fixed_size: 424
    .sgpr_count:     60
    .sgpr_spill_count: 0
    .symbol:         bluestein_single_back_len612_dim1_dp_op_CI_CI.kd
    .uniform_work_group_size: 1
    .uses_dynamic_stack: false
    .vgpr_count:     256
    .vgpr_spill_count: 163
    .wavefront_size: 32
    .workgroup_processor_mode: 1
amdhsa.target:   amdgcn-amd-amdhsa--gfx1201
amdhsa.version:
  - 1
  - 2
...

	.end_amdgpu_metadata
